;; amdgpu-corpus repo=ROCm/aiter kind=harvested arch=n/a opt=n/a

/root/src/amdgpu-assembly/repos/ROCm__aiter/hsa/gfx950/fmoe_2stages/fmoe_stage1_bf16_pertokenInt8_g1u1_80x128_2tg_pf2.co:	file format elf64-amdgpu

Disassembly of section .text:

0000000000002a00 <_ZN5aiter49fmoe_stage1_bf16_pertokenInt8_g1u1_80x128_2tg_pf2E>:
	s_and_b32 s1, s1, 0xffff                                   // 000000002A00: 8601FF01 0000FFFF
	s_load_dwordx2 s[8:9], s[0:1], 0x0                         // 000000002A08: C0060200 00000000
	s_load_dwordx2 s[20:21], s[0:1], 0x10                      // 000000002A10: C0060500 00000010
	s_load_dwordx2 s[24:25], s[0:1], 0x20                      // 000000002A18: C0060600 00000020
	s_load_dwordx2 s[48:49], s[0:1], 0x30                      // 000000002A20: C0060C00 00000030
	s_load_dwordx2 s[28:29], s[0:1], 0x40                      // 000000002A28: C0060700 00000040
	s_load_dwordx2 s[32:33], s[0:1], 0x50                      // 000000002A30: C0060800 00000050
	s_load_dwordx2 s[36:37], s[0:1], 0x60                      // 000000002A38: C0060900 00000060
	s_load_dwordx2 s[12:13], s[0:1], 0x70                      // 000000002A40: C0060300 00000070
	s_load_dwordx2 s[44:45], s[0:1], 0x80                      // 000000002A48: C0060B00 00000080
	s_mov_b32 s89, 0                                           // 000000002A50: BED90080
	s_load_dword s64, s[0:1], 0x90                             // 000000002A54: C0021000 00000090
	s_load_dword s65, s[0:1], 0xa0                             // 000000002A5C: C0021040 000000A0
	s_load_dword s66, s[0:1], 0xb0                             // 000000002A64: C0021080 000000B0
	s_load_dword s67, s[0:1], 0xc0                             // 000000002A6C: C00210C0 000000C0
	s_load_dword s68, s[0:1], 0xd0                             // 000000002A74: C0021100 000000D0
	s_load_dword s69, s[0:1], 0xe0                             // 000000002A7C: C0021140 000000E0
	s_load_dword s71, s[0:1], 0xf0                             // 000000002A84: C00211C0 000000F0
	s_load_dword s72, s[0:1], 0x100                            // 000000002A8C: C0021200 00000100
	s_load_dword s74, s[0:1], 0x110                            // 000000002A94: C0021280 00000110
	s_load_dword s76, s[0:1], 0x120                            // 000000002A9C: C0021300 00000120
	s_load_dword s56, s[0:1], 0x130                            // 000000002AA4: C0020E00 00000130
	s_load_dword s88, s[0:1], 0x140                            // 000000002AAC: C0021600 00000140
	s_load_dword s89, s[0:1], 0x150                            // 000000002AB4: C0021640 00000150
	v_lshrrev_b32_e32 v1, 10, v0                               // 000000002ABC: 2002008A
	v_lshrrev_b32_e32 v2, 10, v1                               // 000000002AC0: 2004028A
	v_and_b32_e32 v2, 0x3ff, v2                                // 000000002AC4: 260404FF 000003FF
	v_and_b32_e32 v1, 0x3ff, v1                                // 000000002ACC: 260202FF 000003FF
	v_and_b32_e32 v0, 0x3ff, v0                                // 000000002AD4: 260000FF 000003FF
	v_lshrrev_b32_e32 v3, 6, v0                                // 000000002ADC: 20060086
	v_and_b32_e32 v0, 63, v0                                   // 000000002AE0: 260000BF
	s_mov_b32 s2, s2                                           // 000000002AE4: BE820002
	s_mov_b32 s3, s3                                           // 000000002AE8: BE830003
	s_mov_b32 s4, s4                                           // 000000002AEC: BE840004
	v_readfirstlane_b32 s7, v3                                 // 000000002AF0: 7E0E0503
	s_waitcnt lgkmcnt(0)                                       // 000000002AF4: BF8CC07F
	s_and_b32 s49, s49, 0xffff                                 // 000000002AF8: 8631FF31 0000FFFF
	s_load_dword s48, s[48:49], 0x0                            // 000000002B00: C0020C18 00000000
	s_and_b32 s45, s45, 0xffff                                 // 000000002B08: 862DFF2D 0000FFFF
	s_and_b32 s9, s9, 0xffff                                   // 000000002B10: 8609FF09 0000FFFF
	s_mul_i32 s60, s66, s68                                    // 000000002B18: 923C4442
	s_mul_i32 s61, s66, 4                                      // 000000002B1C: 923D8442
	s_mov_b32 s22, s60                                         // 000000002B20: BE96003C
	s_mov_b32 s26, -16                                         // 000000002B24: BE9A00D0
	s_mov_b32 s30, s61                                         // 000000002B28: BE9E003D
	s_mov_b32 s14, 0x140                                       // 000000002B2C: BE8E00FF 00000140
	s_mov_b32 s38, -16                                         // 000000002B34: BEA600D0
	s_mov_b32 s10, -16                                         // 000000002B38: BE8A00D0
	s_mov_b32 s34, 0x200                                       // 000000002B3C: BEA200FF 00000200
	s_mov_b32 s23, 0x20000                                     // 000000002B44: BE9700FF 00020000
	s_mov_b32 s27, 0x20000                                     // 000000002B4C: BE9B00FF 00020000
	s_mov_b32 s31, 0x20000                                     // 000000002B54: BE9F00FF 00020000
	s_mov_b32 s35, 0x20000                                     // 000000002B5C: BEA300FF 00020000
	s_mov_b32 s15, 0x20000                                     // 000000002B64: BE8F00FF 00020000
	s_mov_b32 s39, 0x20000                                     // 000000002B6C: BEA700FF 00020000
	s_mov_b32 s11, 0x20000                                     // 000000002B74: BE8B00FF 00020000
	s_and_b32 s21, s21, 0xffff                                 // 000000002B7C: 8615FF15 0000FFFF
	s_and_b32 s25, s25, 0xffff                                 // 000000002B84: 8619FF19 0000FFFF
	s_and_b32 s29, s29, 0xffff                                 // 000000002B8C: 861DFF1D 0000FFFF
	s_and_b32 s33, s33, 0xffff                                 // 000000002B94: 8621FF21 0000FFFF
	s_and_b32 s13, s13, 0xffff                                 // 000000002B9C: 860DFF0D 0000FFFF
	s_and_b32 s37, s37, 0xffff                                 // 000000002BA4: 8625FF25 0000FFFF
	s_or_b32 s21, s21, 0x40000                                 // 000000002BAC: 8715FF15 00040000
	s_or_b32 s25, s25, 0x40000                                 // 000000002BB4: 8719FF19 00040000
	s_or_b32 s29, s29, 0x40000                                 // 000000002BBC: 871DFF1D 00040000
	s_or_b32 s33, s33, 0x40000                                 // 000000002BC4: 8721FF21 00040000
	s_or_b32 s13, s13, 0x40000                                 // 000000002BCC: 870DFF0D 00040000
	s_or_b32 s37, s37, 0x40000                                 // 000000002BD4: 8725FF25 00040000
	v_accvgpr_write_b32 a111, 0                                // 000000002BDC: D3D9406F 18000080
	v_mov_b32_e32 v139, 0                                      // 000000002BE4: 7F160280
	s_waitcnt lgkmcnt(0)                                       // 000000002BE8: BF8CC07F
	s_mul_i32 s60, s3, 0x50                                    // 000000002BEC: 923CFF03 00000050
	s_cmp_lt_i32 s60, s48                                      // 000000002BF4: BF04303C
	s_cbranch_scc0 label_1F56                                  // 000000002BF8: BF841ED4
	s_mov_b32 s80, 0                                           // 000000002BFC: BED00080
	s_lshr_b32 s81, s64, s88                                   // 000000002C00: 8F515840
	s_mul_i32 s60, s3, 4                                       // 000000002C04: 923C8403
	s_add_u32 s44, s60, s44                                    // 000000002C08: 802C2C3C
	s_addc_u32 s45, 0, s45                                     // 000000002C0C: 822D2D80
	s_load_dword s5, s[44:45], 0x0                             // 000000002C10: C0020156 00000000
	s_mul_i32 s60, s3, 0x50                                    // 000000002C18: 923CFF03 00000050
	s_mul_i32 s60, 4, s60                                      // 000000002C20: 923C3C84
	s_add_u32 s12, s60, s12                                    // 000000002C24: 800C0C3C
	s_addc_u32 s13, 0, s13                                     // 000000002C28: 820D0D80
	v_and_b32_e32 v4, 15, v0                                   // 000000002C2C: 2608008F
	v_lshlrev_b32_e32 v4, 2, v4                                // 000000002C30: 24080882
	buffer_load_dword v28, v4, s[12:15], 0 offen               // 000000002C34: E0501000 80031C04
	v_add_u32_e32 v4, 64, v4                                   // 000000002C3C: 680808C0
	buffer_load_dword v29, v4, s[12:15], 0 offen               // 000000002C40: E0501000 80031D04
	v_add_u32_e32 v4, 64, v4                                   // 000000002C48: 680808C0
	buffer_load_dword v30, v4, s[12:15], 0 offen               // 000000002C4C: E0501000 80031E04
	v_add_u32_e32 v4, 64, v4                                   // 000000002C54: 680808C0
	buffer_load_dword v31, v4, s[12:15], 0 offen               // 000000002C58: E0501000 80031F04
	v_add_u32_e32 v4, 64, v4                                   // 000000002C60: 680808C0
	buffer_load_dword v32, v4, s[12:15], 0 offen               // 000000002C64: E0501000 80032004
	v_add_u32_e32 v4, 64, v4                                   // 000000002C6C: 680808C0
	s_mul_i32 s60, 4, s7                                       // 000000002C70: 923C0784
	v_lshlrev_b32_e32 v4, 4, v0                                // 000000002C74: 24080084
	v_add_u32_e32 v4, s60, v4                                  // 000000002C78: 6808083C
	buffer_load_dword v3, v4, s[12:15], 0 offen                // 000000002C7C: E0501000 80030304
	v_mov_b32_e32 v60, 0                                       // 000000002C84: 7E780280
	v_mov_b32_e32 v100, 0                                      // 000000002C88: 7EC80280
	v_mov_b32_e32 v61, 0                                       // 000000002C8C: 7E7A0280
	v_mov_b32_e32 v101, 0                                      // 000000002C90: 7ECA0280
	v_mov_b32_e32 v62, 0                                       // 000000002C94: 7E7C0280
	v_mov_b32_e32 v102, 0                                      // 000000002C98: 7ECC0280
	v_mov_b32_e32 v63, 0                                       // 000000002C9C: 7E7E0280
	v_mov_b32_e32 v103, 0                                      // 000000002CA0: 7ECE0280
	v_mov_b32_e32 v64, 0                                       // 000000002CA4: 7E800280
	v_mov_b32_e32 v104, 0                                      // 000000002CA8: 7ED00280
	v_mov_b32_e32 v65, 0                                       // 000000002CAC: 7E820280
	v_mov_b32_e32 v105, 0                                      // 000000002CB0: 7ED20280
	v_mov_b32_e32 v66, 0                                       // 000000002CB4: 7E840280
	v_mov_b32_e32 v106, 0                                      // 000000002CB8: 7ED40280
	v_mov_b32_e32 v67, 0                                       // 000000002CBC: 7E860280
	v_mov_b32_e32 v107, 0                                      // 000000002CC0: 7ED60280
	v_mov_b32_e32 v68, 0                                       // 000000002CC4: 7E880280
	v_mov_b32_e32 v108, 0                                      // 000000002CC8: 7ED80280
	v_mov_b32_e32 v69, 0                                       // 000000002CCC: 7E8A0280
	v_mov_b32_e32 v109, 0                                      // 000000002CD0: 7EDA0280
	v_mov_b32_e32 v70, 0                                       // 000000002CD4: 7E8C0280
	v_mov_b32_e32 v110, 0                                      // 000000002CD8: 7EDC0280
	v_mov_b32_e32 v71, 0                                       // 000000002CDC: 7E8E0280
	v_mov_b32_e32 v111, 0                                      // 000000002CE0: 7EDE0280
	v_mov_b32_e32 v72, 0                                       // 000000002CE4: 7E900280
	v_mov_b32_e32 v112, 0                                      // 000000002CE8: 7EE00280
	v_mov_b32_e32 v73, 0                                       // 000000002CEC: 7E920280
	v_mov_b32_e32 v113, 0                                      // 000000002CF0: 7EE20280
	v_mov_b32_e32 v74, 0                                       // 000000002CF4: 7E940280
	v_mov_b32_e32 v114, 0                                      // 000000002CF8: 7EE40280
	v_mov_b32_e32 v75, 0                                       // 000000002CFC: 7E960280
	v_mov_b32_e32 v115, 0                                      // 000000002D00: 7EE60280
	v_mov_b32_e32 v76, 0                                       // 000000002D04: 7E980280
	v_mov_b32_e32 v116, 0                                      // 000000002D08: 7EE80280
	v_mov_b32_e32 v77, 0                                       // 000000002D0C: 7E9A0280
	v_mov_b32_e32 v117, 0                                      // 000000002D10: 7EEA0280
	v_mov_b32_e32 v78, 0                                       // 000000002D14: 7E9C0280
	v_mov_b32_e32 v118, 0                                      // 000000002D18: 7EEC0280
	v_mov_b32_e32 v79, 0                                       // 000000002D1C: 7E9E0280
	v_mov_b32_e32 v119, 0                                      // 000000002D20: 7EEE0280
	v_mov_b32_e32 v80, 0                                       // 000000002D24: 7EA00280
	v_mov_b32_e32 v120, 0                                      // 000000002D28: 7EF00280
	v_mov_b32_e32 v81, 0                                       // 000000002D2C: 7EA20280
	v_mov_b32_e32 v121, 0                                      // 000000002D30: 7EF20280
	v_mov_b32_e32 v82, 0                                       // 000000002D34: 7EA40280
	v_mov_b32_e32 v122, 0                                      // 000000002D38: 7EF40280
	v_mov_b32_e32 v83, 0                                       // 000000002D3C: 7EA60280
	v_mov_b32_e32 v123, 0                                      // 000000002D40: 7EF60280
	v_mov_b32_e32 v84, 0                                       // 000000002D44: 7EA80280
	v_mov_b32_e32 v124, 0                                      // 000000002D48: 7EF80280
	v_mov_b32_e32 v85, 0                                       // 000000002D4C: 7EAA0280
	v_mov_b32_e32 v125, 0                                      // 000000002D50: 7EFA0280
	v_mov_b32_e32 v86, 0                                       // 000000002D54: 7EAC0280
	v_mov_b32_e32 v126, 0                                      // 000000002D58: 7EFC0280
	v_mov_b32_e32 v87, 0                                       // 000000002D5C: 7EAE0280
	v_mov_b32_e32 v127, 0                                      // 000000002D60: 7EFE0280
	v_mov_b32_e32 v88, 0                                       // 000000002D64: 7EB00280
	v_mov_b32_e32 v128, 0                                      // 000000002D68: 7F000280
	v_mov_b32_e32 v89, 0                                       // 000000002D6C: 7EB20280
	v_mov_b32_e32 v129, 0                                      // 000000002D70: 7F020280
	v_mov_b32_e32 v90, 0                                       // 000000002D74: 7EB40280
	v_mov_b32_e32 v130, 0                                      // 000000002D78: 7F040280
	v_mov_b32_e32 v91, 0                                       // 000000002D7C: 7EB60280
	v_mov_b32_e32 v131, 0                                      // 000000002D80: 7F060280
	v_mov_b32_e32 v92, 0                                       // 000000002D84: 7EB80280
	v_mov_b32_e32 v132, 0                                      // 000000002D88: 7F080280
	v_mov_b32_e32 v93, 0                                       // 000000002D8C: 7EBA0280
	v_mov_b32_e32 v133, 0                                      // 000000002D90: 7F0A0280
	v_mov_b32_e32 v94, 0                                       // 000000002D94: 7EBC0280
	v_mov_b32_e32 v134, 0                                      // 000000002D98: 7F0C0280
	v_mov_b32_e32 v95, 0                                       // 000000002D9C: 7EBE0280
	v_mov_b32_e32 v135, 0                                      // 000000002DA0: 7F0E0280
	v_mov_b32_e32 v96, 0                                       // 000000002DA4: 7EC00280
	v_mov_b32_e32 v136, 0                                      // 000000002DA8: 7F100280
	v_mov_b32_e32 v97, 0                                       // 000000002DAC: 7EC20280
	v_mov_b32_e32 v137, 0                                      // 000000002DB0: 7F120280
	v_mov_b32_e32 v98, 0                                       // 000000002DB4: 7EC40280
	v_mov_b32_e32 v138, 0                                      // 000000002DB8: 7F140280
	v_mov_b32_e32 v99, 0                                       // 000000002DBC: 7EC60280
	v_mov_b32_e32 v139, 0                                      // 000000002DC0: 7F160280
	s_mul_i32 s60, s2, 0x100                                   // 000000002DC4: 923CFF02 00000100
	s_cmp_eq_u32 s88, 0                                        // 000000002DCC: BF068058
	s_cselect_b32 s61, 1, 2                                    // 000000002DD0: 853D8281
	s_mul_i32 s60, s60, s61                                    // 000000002DD4: 923C3D3C
	s_mov_b32 s90, s8                                          // 000000002DD8: BEDA0008
	s_mov_b32 s91, s9                                          // 000000002DDC: BEDB0009
	s_add_u32 s8, s60, s8                                      // 000000002DE0: 8008083C
	s_addc_u32 s9, 0, s9                                       // 000000002DE4: 82090980
	v_lshrrev_b32_e32 v4, 4, v0                                // 000000002DE8: 20080084
	v_mul_lo_u32 v20, 34, v4                                   // 000000002DEC: D2850014 000208A2
	v_and_b32_e32 v4, 15, v0                                   // 000000002DF4: 2608008F
	v_mul_lo_u32 v5, 2, v4                                     // 000000002DF8: D2850005 00020882
	v_add_u32_e32 v20, v5, v20                                 // 000000002E00: 68282905
	s_mul_i32 s60, s7, 0x88                                    // 000000002E04: 923CFF07 00000088
	v_add_u32_e32 v20, s60, v20                                // 000000002E0C: 6828283C
	v_lshlrev_b32_e32 v20, 2, v20                              // 000000002E10: 24282882
	v_and_b32_e32 v4, 31, v0                                   // 000000002E14: 2608009F
	v_lshrrev_b32_e32 v4, 1, v4                                // 000000002E18: 20080881
	v_mul_lo_u32 v21, 34, v4                                   // 000000002E1C: D2850015 000208A2
	v_lshrrev_b32_e32 v4, 5, v0                                // 000000002E24: 20080085
	v_mul_lo_u32 v4, 8, v4                                     // 000000002E28: D2850004 00020888
	v_add_u32_e32 v21, v21, v4                                 // 000000002E30: 682A0915
	v_and_b32_e32 v5, 1, v0                                    // 000000002E34: 260A0081
	v_add_u32_e32 v21, v5, v21                                 // 000000002E38: 682A2B05
	s_mul_i32 s60, s7, 2                                       // 000000002E3C: 923C8207
	v_add_u32_e32 v21, s60, v21                                // 000000002E40: 682A2A3C
	v_lshlrev_b32_e32 v21, 2, v21                              // 000000002E44: 242A2A82
	s_mul_i32 s60, s7, 0xa20                                   // 000000002E48: 923CFF07 00000A20
	s_add_u32 s48, 0, s60                                      // 000000002E50: 80303C80
	s_add_u32 s49, 0x2880, s48                                 // 000000002E54: 803130FF 00002880
	v_lshrrev_b32_e32 v4, 4, v0                                // 000000002E5C: 20080084
	v_lshlrev_b32_e32 v5, 2, v4                                // 000000002E60: 240A0882
	v_and_b32_e32 v4, 15, v0                                   // 000000002E64: 2608008F
	v_lshrrev_b32_e32 v6, 2, v4                                // 000000002E68: 200C0882
	v_lshlrev_b32_e32 v6, 5, v6                                // 000000002E6C: 240C0C85
	v_add_u32_e32 v5, v6, v5                                   // 000000002E70: 680A0B06
	v_and_b32_e32 v4, 3, v0                                    // 000000002E74: 26080083
	v_mul_u32_u24_e32 v6, 0x288, v4                            // 000000002E78: 100C08FF 00000288
	v_add_u32_e32 v5, v6, v5                                   // 000000002E80: 680A0B06
	v_lshlrev_b32_e32 v2, 2, v5                                // 000000002E84: 24040A82
	s_waitcnt lgkmcnt(0)                                       // 000000002E88: BF8CC07F
	s_mul_i32 s60, s2, 0x80                                    // 000000002E8C: 923CFF02 00000080
	s_mul_i32 s60, s60, s69                                    // 000000002E94: 923C453C
	s_mul_i32 s61, s5, s72                                     // 000000002E98: 923D4805
	s_add_u32 s60, s61, s60                                    // 000000002E9C: 803C3C3D
	s_add_u32 s24, s60, s24                                    // 000000002EA0: 8018183C
	s_addc_u32 s25, 0, s25                                     // 000000002EA4: 82191980
	s_lshr_b32 s60, s64, s88                                   // 000000002EA8: 8F3C5840
	s_mul_i32 s60, s4, s60                                     // 000000002EAC: 923C3C04
	s_lshr_b32 s60, s60, 7                                     // 000000002EB0: 8F3C873C
	s_mul_i32 s60, s60, 0x800                                  // 000000002EB4: 923CFF3C 00000800
	s_add_u32 s24, s60, s24                                    // 000000002EBC: 8018183C
	s_addc_u32 s25, 0, s25                                     // 000000002EC0: 82191980
	s_lshr_b32 s60, s69, s88                                   // 000000002EC4: 8F3C5845
	s_mul_i32 s60, s4, s60                                     // 000000002EC8: 923C3C04
	s_add_u32 s20, s60, s20                                    // 000000002ECC: 8014143C
	s_addc_u32 s21, 0, s21                                     // 000000002ED0: 82151580
	s_mul_i32 s60, s7, 16                                      // 000000002ED4: 923C9007
	s_mul_i32 s60, s60, s69                                    // 000000002ED8: 923C453C
	v_lshlrev_b32_e32 v58, 4, v0                               // 000000002EDC: 24740084
	v_add_u32_e32 v58, s60, v58                                // 000000002EE0: 6874743C
	s_mul_i32 s60, 64, s69                                     // 000000002EE4: 923C45C0
	v_add_u32_e32 v59, s60, v58                                // 000000002EE8: 6876743C
	s_mov_b32 s84, s24                                         // 000000002EEC: BED40018
	s_mov_b32 s85, s25                                         // 000000002EF0: BED50019
	s_mov_b32 s86, s26                                         // 000000002EF4: BED6001A
	s_mov_b32 s87, s27                                         // 000000002EF8: BED7001B
	s_mul_i32 s60, s69, s65                                    // 000000002EFC: 923C4145
	s_add_u32 s84, s60, s84                                    // 000000002F00: 8054543C
	s_addc_u32 s85, 0, s85                                     // 000000002F04: 82555580
	v_lshrrev_b32_e32 v4, 4, v0                                // 000000002F08: 20080084
	v_lshlrev_b32_e32 v5, 2, v4                                // 000000002F0C: 240A0882
	v_and_b32_e32 v4, 15, v0                                   // 000000002F10: 2608008F
	v_lshrrev_b32_e32 v6, 2, v4                                // 000000002F14: 200C0882
	v_lshlrev_b32_e32 v6, 6, v6                                // 000000002F18: 240C0C86
	v_add_u32_e32 v5, v6, v5                                   // 000000002F1C: 680A0B06
	v_and_b32_e32 v4, 3, v0                                    // 000000002F20: 26080083
	v_add_u32_e32 v5, v4, v5                                   // 000000002F24: 680A0B04
	v_lshlrev_b32_e32 v22, 2, v5                               // 000000002F28: 242C0A82
	s_mul_i32 s60, s7, 16                                      // 000000002F2C: 923C9007
	s_mul_i32 s60, s60, 4                                      // 000000002F30: 923C843C
	v_add_u32_e32 v22, s60, v22                                // 000000002F34: 682C2C3C
	s_mul_i32 s60, s2, 0x80                                    // 000000002F38: 923CFF02 00000080
	s_mul_i32 s60, s60, 4                                      // 000000002F40: 923C843C
	s_mul_i32 s61, s5, s74                                     // 000000002F44: 923D4A05
	s_add_u32 s61, s61, s60                                    // 000000002F48: 803D3C3D
	s_add_u32 s32, s61, s32                                    // 000000002F4C: 8020203D
	s_addc_u32 s33, 0, s33                                     // 000000002F50: 82212180
	s_mov_b32 s57, 0x80                                        // 000000002F54: BEB900FF 00000080
	s_mov_b32 s58, 0x800                                       // 000000002F5C: BEBA00FF 00000800
	s_mov_b32 s83, s58                                         // 000000002F64: BED3003A
	s_mov_b32 s52, 0x7060302                                   // 000000002F68: BEB400FF 07060302
	s_mov_b32 s53, 0x400                                       // 000000002F70: BEB500FF 00000400
	s_mov_b32 s54, 0x40100                                     // 000000002F78: BEB600FF 00040100
	s_mov_b32 s55, 0x4020100                                   // 000000002F80: BEB700FF 04020100
	s_mov_b32 s6, 0x3fb8aa3b                                   // 000000002F88: BE8600FF 3FB8AA3B
	s_mov_b32 s78, 0xbd92220c                                  // 000000002F90: BECE00FF BD92220C
	s_mov_b32 s79, 0xbd92220c                                  // 000000002F98: BECF00FF BD92220C
	s_mov_b32 m0, s48                                          // 000000002FA0: BEFC0030
	v_mov_b32_e32 v1, 0xbfcc4231                               // 000000002FA4: 7E0202FF BFCC4231
	v_mov_b32_e32 v17, 0xffff0000                              // 000000002FAC: 7E2202FF FFFF0000
	v_mov_b32_e32 v18, 0x7fff0000                              // 000000002FB4: 7E2402FF 7FFF0000
	v_mov_b32_e32 v19, 0x7fff                                  // 000000002FBC: 7E2602FF 00007FFF
	s_waitcnt vmcnt(0) expcnt(0) lgkmcnt(0)                    // 000000002FC4: BF8C0000
	v_lshrrev_b32_e32 v4, 5, v0                                // 000000002FC8: 20080085
	v_xor_b32_e32 v5, 1, v4                                    // 000000002FCC: 2A0A0881
	v_readlane_b32 s82, v3, 0                                  // 000000002FD0: D2890052 00010103
	s_and_b32 s82, s82, 0xffffff                               // 000000002FD8: 8652FF52 00FFFFFF
	v_mul_lo_u32 v6, v5, s82                                   // 000000002FE0: D2850006 0000A505
	v_readlane_b32 s82, v3, 1                                  // 000000002FE8: D2890052 00010303
	s_and_b32 s82, s82, 0xffffff                               // 000000002FF0: 8652FF52 00FFFFFF
	v_mul_lo_u32 v7, v4, s82                                   // 000000002FF8: D2850007 0000A504
	v_add_u32_e32 v48, v6, v7                                  // 000000003000: 68600F06
	v_mul_lo_u32 v48, v48, s68                                 // 000000003004: D2850030 00008930
	v_readlane_b32 s82, v3, 2                                  // 00000000300C: D2890052 00010503
	s_and_b32 s82, s82, 0xffffff                               // 000000003014: 8652FF52 00FFFFFF
	v_mul_lo_u32 v6, v5, s82                                   // 00000000301C: D2850006 0000A505
	v_readlane_b32 s82, v3, 3                                  // 000000003024: D2890052 00010703
	s_and_b32 s82, s82, 0xffffff                               // 00000000302C: 8652FF52 00FFFFFF
	v_mul_lo_u32 v7, v4, s82                                   // 000000003034: D2850007 0000A504
	v_add_u32_e32 v49, v6, v7                                  // 00000000303C: 68620F06
	v_mul_lo_u32 v49, v49, s68                                 // 000000003040: D2850031 00008931
	v_readlane_b32 s82, v3, 4                                  // 000000003048: D2890052 00010903
	s_and_b32 s82, s82, 0xffffff                               // 000000003050: 8652FF52 00FFFFFF
	v_mul_lo_u32 v6, v5, s82                                   // 000000003058: D2850006 0000A505
	v_readlane_b32 s82, v3, 5                                  // 000000003060: D2890052 00010B03
	s_and_b32 s82, s82, 0xffffff                               // 000000003068: 8652FF52 00FFFFFF
	v_mul_lo_u32 v7, v4, s82                                   // 000000003070: D2850007 0000A504
	v_add_u32_e32 v50, v6, v7                                  // 000000003078: 68640F06
	v_mul_lo_u32 v50, v50, s68                                 // 00000000307C: D2850032 00008932
	v_readlane_b32 s82, v3, 6                                  // 000000003084: D2890052 00010D03
	s_and_b32 s82, s82, 0xffffff                               // 00000000308C: 8652FF52 00FFFFFF
	v_mul_lo_u32 v6, v5, s82                                   // 000000003094: D2850006 0000A505
	v_readlane_b32 s82, v3, 7                                  // 00000000309C: D2890052 00010F03
	s_and_b32 s82, s82, 0xffffff                               // 0000000030A4: 8652FF52 00FFFFFF
	v_mul_lo_u32 v7, v4, s82                                   // 0000000030AC: D2850007 0000A504
	v_add_u32_e32 v51, v6, v7                                  // 0000000030B4: 68660F06
	v_mul_lo_u32 v51, v51, s68                                 // 0000000030B8: D2850033 00008933
	v_readlane_b32 s82, v3, 8                                  // 0000000030C0: D2890052 00011103
	s_and_b32 s82, s82, 0xffffff                               // 0000000030C8: 8652FF52 00FFFFFF
	v_mul_lo_u32 v6, v5, s82                                   // 0000000030D0: D2850006 0000A505
	v_readlane_b32 s82, v3, 9                                  // 0000000030D8: D2890052 00011303
	s_and_b32 s82, s82, 0xffffff                               // 0000000030E0: 8652FF52 00FFFFFF
	v_mul_lo_u32 v7, v4, s82                                   // 0000000030E8: D2850007 0000A504
	v_add_u32_e32 v52, v6, v7                                  // 0000000030F0: 68680F06
	v_mul_lo_u32 v52, v52, s68                                 // 0000000030F4: D2850034 00008934
	v_readlane_b32 s82, v3, 10                                 // 0000000030FC: D2890052 00011503
	s_and_b32 s82, s82, 0xffffff                               // 000000003104: 8652FF52 00FFFFFF
	v_mul_lo_u32 v6, v5, s82                                   // 00000000310C: D2850006 0000A505
	v_readlane_b32 s82, v3, 11                                 // 000000003114: D2890052 00011703
	s_and_b32 s82, s82, 0xffffff                               // 00000000311C: 8652FF52 00FFFFFF
	v_mul_lo_u32 v7, v4, s82                                   // 000000003124: D2850007 0000A504
	v_add_u32_e32 v53, v6, v7                                  // 00000000312C: 686A0F06
	v_mul_lo_u32 v53, v53, s68                                 // 000000003130: D2850035 00008935
	v_readlane_b32 s82, v3, 12                                 // 000000003138: D2890052 00011903
	s_and_b32 s82, s82, 0xffffff                               // 000000003140: 8652FF52 00FFFFFF
	v_mul_lo_u32 v6, v5, s82                                   // 000000003148: D2850006 0000A505
	v_readlane_b32 s82, v3, 13                                 // 000000003150: D2890052 00011B03
	s_and_b32 s82, s82, 0xffffff                               // 000000003158: 8652FF52 00FFFFFF
	v_mul_lo_u32 v7, v4, s82                                   // 000000003160: D2850007 0000A504
	v_add_u32_e32 v54, v6, v7                                  // 000000003168: 686C0F06
	v_mul_lo_u32 v54, v54, s68                                 // 00000000316C: D2850036 00008936
	v_readlane_b32 s82, v3, 14                                 // 000000003174: D2890052 00011D03
	s_and_b32 s82, s82, 0xffffff                               // 00000000317C: 8652FF52 00FFFFFF
	v_mul_lo_u32 v6, v5, s82                                   // 000000003184: D2850006 0000A505
	v_readlane_b32 s82, v3, 15                                 // 00000000318C: D2890052 00011F03
	s_and_b32 s82, s82, 0xffffff                               // 000000003194: 8652FF52 00FFFFFF
	v_mul_lo_u32 v7, v4, s82                                   // 00000000319C: D2850007 0000A504
	v_add_u32_e32 v55, v6, v7                                  // 0000000031A4: 686E0F06
	v_mul_lo_u32 v55, v55, s68                                 // 0000000031A8: D2850037 00008937
	v_readlane_b32 s82, v3, 16                                 // 0000000031B0: D2890052 00012103
	s_and_b32 s82, s82, 0xffffff                               // 0000000031B8: 8652FF52 00FFFFFF
	v_mul_lo_u32 v6, v5, s82                                   // 0000000031C0: D2850006 0000A505
	v_readlane_b32 s82, v3, 17                                 // 0000000031C8: D2890052 00012303
	s_and_b32 s82, s82, 0xffffff                               // 0000000031D0: 8652FF52 00FFFFFF
	v_mul_lo_u32 v7, v4, s82                                   // 0000000031D8: D2850007 0000A504
	v_add_u32_e32 v56, v6, v7                                  // 0000000031E0: 68700F06
	v_mul_lo_u32 v56, v56, s68                                 // 0000000031E4: D2850038 00008938
	v_readlane_b32 s82, v3, 18                                 // 0000000031EC: D2890052 00012503
	s_and_b32 s82, s82, 0xffffff                               // 0000000031F4: 8652FF52 00FFFFFF
	v_mul_lo_u32 v6, v5, s82                                   // 0000000031FC: D2850006 0000A505
	v_readlane_b32 s82, v3, 19                                 // 000000003204: D2890052 00012703
	s_and_b32 s82, s82, 0xffffff                               // 00000000320C: 8652FF52 00FFFFFF
	v_mul_lo_u32 v7, v4, s82                                   // 000000003214: D2850007 0000A504
	v_add_u32_e32 v57, v6, v7                                  // 00000000321C: 68720F06
	v_mul_lo_u32 v57, v57, s68                                 // 000000003220: D2850039 00008939
	v_and_b32_e32 v4, 31, v0                                   // 000000003228: 2608009F
	v_lshlrev_b32_e32 v4, 2, v4                                // 00000000322C: 24080882
	v_add_u32_e32 v48, v48, v4                                 // 000000003230: 68600930
	v_add_u32_e32 v49, v49, v4                                 // 000000003234: 68620931
	;; [unrolled: 1-line block ×3, first 2 shown]
	v_add_u32_e32 v51, v51, v4                                 // 00000000323C: 68660933
	v_add_u32_e32 v52, v52, v4                                 // 000000003240: 68680934
	v_add_u32_e32 v53, v53, v4                                 // 000000003244: 686A0935
	v_add_u32_e32 v54, v54, v4                                 // 000000003248: 686C0936
	v_add_u32_e32 v55, v55, v4                                 // 00000000324C: 686E0937
	v_add_u32_e32 v56, v56, v4                                 // 000000003250: 68700938
	v_add_u32_e32 v57, v57, v4                                 // 000000003254: 68720939
	v_and_b32_e32 v28, 0xffffff, v28                           // 000000003258: 263838FF 00FFFFFF
	v_lshlrev_b32_e32 v28, 2, v28                              // 000000003260: 24383882
	v_and_b32_e32 v29, 0xffffff, v29                           // 000000003264: 263A3AFF 00FFFFFF
	v_lshlrev_b32_e32 v29, 2, v29                              // 00000000326C: 243A3A82
	v_and_b32_e32 v30, 0xffffff, v30                           // 000000003270: 263C3CFF 00FFFFFF
	v_lshlrev_b32_e32 v30, 2, v30                              // 000000003278: 243C3C82
	v_and_b32_e32 v31, 0xffffff, v31                           // 00000000327C: 263E3EFF 00FFFFFF
	v_lshlrev_b32_e32 v31, 2, v31                              // 000000003284: 243E3E82
	v_and_b32_e32 v32, 0xffffff, v32                           // 000000003288: 264040FF 00FFFFFF
	v_lshlrev_b32_e32 v32, 2, v32                              // 000000003290: 24404082
	s_lshl_b32 s3, s66, 2                                      // 000000003294: 8E038242
	buffer_load_dword v33, v28, s[28:31], 0 offen              // 000000003298: E0501000 8007211C
	buffer_load_dword v34, v29, s[28:31], 0 offen              // 0000000032A0: E0501000 8007221D
	buffer_load_dword v35, v30, s[28:31], 0 offen              // 0000000032A8: E0501000 8007231E
	buffer_load_dword v36, v31, s[28:31], 0 offen              // 0000000032B0: E0501000 8007241F
	buffer_load_dword v37, v32, s[28:31], 0 offen              // 0000000032B8: E0501000 80072520
	buffer_load_dword v24, v22, s[32:35], 0 offen              // 0000000032C0: E0501000 80081816
	s_mul_i32 s60, 4, s65                                      // 0000000032C8: 923C4184
	s_add_u32 s32, s60, s32                                    // 0000000032CC: 8020203C
	s_addc_u32 s33, 0, s33                                     // 0000000032D0: 82212180
	buffer_load_dword v26, v22, s[32:35], 0 offen              // 0000000032D4: E0501000 80081A16
	buffer_load_dword v48, s[20:23], 0 offen lds               // 0000000032DC: E0511000 80050030
	s_add_u32 m0, 0x100, s48                                   // 0000000032E4: 807C30FF 00000100
	buffer_load_dword v49, s[20:23], 0 offen lds               // 0000000032EC: E0511000 80050031
	s_add_u32 m0, 0x200, s48                                   // 0000000032F4: 807C30FF 00000200
	buffer_load_dword v50, s[20:23], 0 offen lds               // 0000000032FC: E0511000 80050032
	s_add_u32 m0, 0x300, s48                                   // 000000003304: 807C30FF 00000300
	buffer_load_dword v51, s[20:23], 0 offen lds               // 00000000330C: E0511000 80050033
	s_add_u32 m0, 0x400, s48                                   // 000000003314: 807C30FF 00000400
	buffer_load_dword v52, s[20:23], 0 offen lds               // 00000000331C: E0511000 80050034
	s_add_u32 m0, 0x500, s48                                   // 000000003324: 807C30FF 00000500
	buffer_load_dword v53, s[20:23], 0 offen lds               // 00000000332C: E0511000 80050035
	s_add_u32 m0, 0x600, s48                                   // 000000003334: 807C30FF 00000600
	buffer_load_dword v54, s[20:23], 0 offen lds               // 00000000333C: E0511000 80050036
	s_add_u32 m0, 0x700, s48                                   // 000000003344: 807C30FF 00000700
	buffer_load_dword v55, s[20:23], 0 offen lds               // 00000000334C: E0511000 80050037
	s_add_u32 m0, 0x800, s48                                   // 000000003354: 807C30FF 00000800
	buffer_load_dword v56, s[20:23], 0 offen lds               // 00000000335C: E0511000 80050038
	s_add_u32 m0, 0x900, s48                                   // 000000003364: 807C30FF 00000900
	buffer_load_dword v57, s[20:23], 0 offen lds               // 00000000336C: E0511000 80050039
	s_add_u32 m0, 0, s49                                       // 000000003374: 807C3180
	s_add_u32 s20, s57, s20                                    // 000000003378: 80141439
	s_addc_u32 s21, 0, s21                                     // 00000000337C: 82151580
	buffer_load_dword v48, s[20:23], 0 offen lds               // 000000003380: E0511000 80050030
	s_add_u32 m0, 0x100, s49                                   // 000000003388: 807C31FF 00000100
	buffer_load_dword v49, s[20:23], 0 offen lds               // 000000003390: E0511000 80050031
	s_add_u32 m0, 0x200, s49                                   // 000000003398: 807C31FF 00000200
	buffer_load_dword v50, s[20:23], 0 offen lds               // 0000000033A0: E0511000 80050032
	s_add_u32 m0, 0x300, s49                                   // 0000000033A8: 807C31FF 00000300
	buffer_load_dword v51, s[20:23], 0 offen lds               // 0000000033B0: E0511000 80050033
	s_add_u32 m0, 0x400, s49                                   // 0000000033B8: 807C31FF 00000400
	buffer_load_dword v52, s[20:23], 0 offen lds               // 0000000033C0: E0511000 80050034
	s_add_u32 m0, 0x500, s49                                   // 0000000033C8: 807C31FF 00000500
	buffer_load_dword v53, s[20:23], 0 offen lds               // 0000000033D0: E0511000 80050035
	s_add_u32 m0, 0x600, s49                                   // 0000000033D8: 807C31FF 00000600
	buffer_load_dword v54, s[20:23], 0 offen lds               // 0000000033E0: E0511000 80050036
	s_add_u32 m0, 0x700, s49                                   // 0000000033E8: 807C31FF 00000700
	buffer_load_dword v55, s[20:23], 0 offen lds               // 0000000033F0: E0511000 80050037
	s_add_u32 m0, 0x800, s49                                   // 0000000033F8: 807C31FF 00000800
	buffer_load_dword v56, s[20:23], 0 offen lds               // 000000003400: E0511000 80050038
	s_add_u32 m0, 0x900, s49                                   // 000000003408: 807C31FF 00000900
	buffer_load_dword v57, s[20:23], 0 offen lds               // 000000003410: E0511000 80050039
	s_add_u32 m0, 0, s48                                       // 000000003418: 807C3080
	s_add_u32 s20, s57, s20                                    // 00000000341C: 80141439
	s_addc_u32 s21, 0, s21                                     // 000000003420: 82151580
	buffer_load_dwordx4 a[80:83], v58, s[24:27], 0 offen       // 000000003424: E05C1000 8086503A
	buffer_load_dwordx4 a[84:87], v58, s[24:27], 0 offen offset:1024// 00000000342C: E05C1400 8086543A
	buffer_load_dwordx4 a[88:91], v59, s[24:27], 0 offen       // 000000003434: E05C1000 8086583B
	buffer_load_dwordx4 a[92:95], v59, s[24:27], 0 offen offset:1024// 00000000343C: E05C1400 80865C3B
	s_add_u32 s24, s58, s24                                    // 000000003444: 8018183A
	s_addc_u32 s25, 0, s25                                     // 000000003448: 82191980
	s_waitcnt vmcnt(14)                                        // 00000000344C: BF8C0F7E
	s_barrier                                                  // 000000003450: BF8A0000
	ds_read_b128 a[0:3], v2                                    // 000000003454: DBFE0000 00000002
	ds_read_b128 a[4:7], v2 offset:64                          // 00000000345C: DBFE0040 04000002
	ds_read_b128 a[8:11], v2 offset:512                        // 000000003464: DBFE0200 08000002
	ds_read_b128 a[12:15], v2 offset:576                       // 00000000346C: DBFE0240 0C000002
	ds_read_b128 a[16:19], v2 offset:1024                      // 000000003474: DBFE0400 10000002
	ds_read_b128 a[20:23], v2 offset:1088                      // 00000000347C: DBFE0440 14000002
	ds_read_b128 a[24:27], v2 offset:1536                      // 000000003484: DBFE0600 18000002
	ds_read_b128 a[28:31], v2 offset:1600                      // 00000000348C: DBFE0640 1C000002
	ds_read_b128 a[32:35], v2 offset:2048                      // 000000003494: DBFE0800 20000002
	ds_read_b128 a[36:39], v2 offset:2112                      // 00000000349C: DBFE0840 24000002
	s_cmp_lt_i32 s7, 2                                         // 0000000034A4: BF048207
	s_cbranch_scc0 label_1102                                  // 0000000034A8: BF840E54

00000000000034ac <label_02AB>:
	s_waitcnt vmcnt(2) lgkmcnt(0)                              // 0000000034AC: BF8C0072
	s_barrier                                                  // 0000000034B0: BF8A0000
	v_mfma_i32_16x16x32_i8 v[60:63], a[80:81], a[0:1], v[60:63]// 0000000034B4: D3D7003C 1CF20150
	v_mfma_i32_16x16x32_i8 v[60:63], a[82:83], a[2:3], v[60:63]// 0000000034BC: D3D7003C 1CF20552
	buffer_load_dwordx4 a[96:99], v58, s[84:87], 0 offen       // 0000000034C4: E05C1000 8095603A
	v_mfma_i32_16x16x32_i8 v[60:63], a[84:85], a[4:5], v[60:63]// 0000000034CC: D3D7003C 1CF20954
	v_mfma_i32_16x16x32_i8 v[60:63], a[86:87], a[6:7], v[60:63]// 0000000034D4: D3D7003C 1CF20D56
	v_mfma_i32_16x16x32_i8 v[64:67], a[80:81], a[8:9], v[64:67]// 0000000034DC: D3D70040 1D021150
	v_mfma_i32_16x16x32_i8 v[64:67], a[82:83], a[10:11], v[64:67]// 0000000034E4: D3D70040 1D021552
	buffer_load_dwordx4 a[100:103], v58, s[84:87], 0 offen offset:1024// 0000000034EC: E05C1400 8095643A
	v_mfma_i32_16x16x32_i8 v[64:67], a[84:85], a[12:13], v[64:67]// 0000000034F4: D3D70040 1D021954
	v_mfma_i32_16x16x32_i8 v[64:67], a[86:87], a[14:15], v[64:67]// 0000000034FC: D3D70040 1D021D56
	v_mfma_i32_16x16x32_i8 v[68:71], a[80:81], a[16:17], v[68:71]// 000000003504: D3D70044 1D122150
	v_mfma_i32_16x16x32_i8 v[68:71], a[82:83], a[18:19], v[68:71]// 00000000350C: D3D70044 1D122552
	buffer_load_dwordx4 a[104:107], v59, s[84:87], 0 offen     // 000000003514: E05C1000 8095683B
	v_mfma_i32_16x16x32_i8 v[68:71], a[84:85], a[20:21], v[68:71]// 00000000351C: D3D70044 1D122954
	v_mfma_i32_16x16x32_i8 v[68:71], a[86:87], a[22:23], v[68:71]// 000000003524: D3D70044 1D122D56
	v_mfma_i32_16x16x32_i8 v[72:75], a[80:81], a[24:25], v[72:75]// 00000000352C: D3D70048 1D223150
	v_mfma_i32_16x16x32_i8 v[72:75], a[82:83], a[26:27], v[72:75]// 000000003534: D3D70048 1D223552
	buffer_load_dwordx4 a[108:111], v59, s[84:87], 0 offen offset:1024// 00000000353C: E05C1400 80956C3B
	buffer_load_dword v48, s[20:23], 0 offen lds               // 000000003544: E0511000 80050030
	s_add_u32 m0, 0x100, s48                                   // 00000000354C: 807C30FF 00000100
	v_mfma_i32_16x16x32_i8 v[72:75], a[84:85], a[28:29], v[72:75]// 000000003554: D3D70048 1D223954
	v_mfma_i32_16x16x32_i8 v[72:75], a[86:87], a[30:31], v[72:75]// 00000000355C: D3D70048 1D223D56
	buffer_load_dword v49, s[20:23], 0 offen lds               // 000000003564: E0511000 80050031
	s_add_u32 m0, 0x200, s48                                   // 00000000356C: 807C30FF 00000200
	v_mfma_i32_16x16x32_i8 v[76:79], a[80:81], a[32:33], v[76:79]// 000000003574: D3D7004C 1D324150
	v_mfma_i32_16x16x32_i8 v[76:79], a[82:83], a[34:35], v[76:79]// 00000000357C: D3D7004C 1D324552
	buffer_load_dword v50, s[20:23], 0 offen lds               // 000000003584: E0511000 80050032
	s_add_u32 m0, 0x300, s48                                   // 00000000358C: 807C30FF 00000300
	v_mfma_i32_16x16x32_i8 v[76:79], a[84:85], a[36:37], v[76:79]// 000000003594: D3D7004C 1D324954
	v_mfma_i32_16x16x32_i8 v[76:79], a[86:87], a[38:39], v[76:79]// 00000000359C: D3D7004C 1D324D56
	buffer_load_dword v51, s[20:23], 0 offen lds               // 0000000035A4: E0511000 80050033
	s_add_u32 m0, 0x400, s48                                   // 0000000035AC: 807C30FF 00000400
	s_waitcnt vmcnt(8)                                         // 0000000035B4: BF8C0F78
	v_mfma_i32_16x16x32_i8 v[80:83], a[88:89], a[0:1], v[80:83]// 0000000035B8: D3D70050 1D420158
	v_mfma_i32_16x16x32_i8 v[80:83], a[90:91], a[2:3], v[80:83]// 0000000035C0: D3D70050 1D42055A
	buffer_load_dword v52, s[20:23], 0 offen lds               // 0000000035C8: E0511000 80050034
	s_add_u32 m0, 0x500, s48                                   // 0000000035D0: 807C30FF 00000500
	v_mfma_i32_16x16x32_i8 v[80:83], a[92:93], a[4:5], v[80:83]// 0000000035D8: D3D70050 1D42095C
	v_mfma_i32_16x16x32_i8 v[80:83], a[94:95], a[6:7], v[80:83]// 0000000035E0: D3D70050 1D420D5E
	buffer_load_dword v53, s[20:23], 0 offen lds               // 0000000035E8: E0511000 80050035
	s_add_u32 m0, 0x600, s48                                   // 0000000035F0: 807C30FF 00000600
	v_mfma_i32_16x16x32_i8 v[84:87], a[88:89], a[8:9], v[84:87]// 0000000035F8: D3D70054 1D521158
	v_mfma_i32_16x16x32_i8 v[84:87], a[90:91], a[10:11], v[84:87]// 000000003600: D3D70054 1D52155A
	buffer_load_dword v54, s[20:23], 0 offen lds               // 000000003608: E0511000 80050036
	s_add_u32 m0, 0x700, s48                                   // 000000003610: 807C30FF 00000700
	v_mfma_i32_16x16x32_i8 v[84:87], a[92:93], a[12:13], v[84:87]// 000000003618: D3D70054 1D52195C
	v_mfma_i32_16x16x32_i8 v[84:87], a[94:95], a[14:15], v[84:87]// 000000003620: D3D70054 1D521D5E
	buffer_load_dword v55, s[20:23], 0 offen lds               // 000000003628: E0511000 80050037
	s_add_u32 m0, 0x800, s48                                   // 000000003630: 807C30FF 00000800
	v_mfma_i32_16x16x32_i8 v[88:91], a[88:89], a[16:17], v[88:91]// 000000003638: D3D70058 1D622158
	v_mfma_i32_16x16x32_i8 v[88:91], a[90:91], a[18:19], v[88:91]// 000000003640: D3D70058 1D62255A
	buffer_load_dword v56, s[20:23], 0 offen lds               // 000000003648: E0511000 80050038
	s_add_u32 m0, 0x900, s48                                   // 000000003650: 807C30FF 00000900
	v_mfma_i32_16x16x32_i8 v[88:91], a[92:93], a[20:21], v[88:91]// 000000003658: D3D70058 1D62295C
	v_mfma_i32_16x16x32_i8 v[88:91], a[94:95], a[22:23], v[88:91]// 000000003660: D3D70058 1D622D5E
	buffer_load_dword v57, s[20:23], 0 offen lds               // 000000003668: E0511000 80050039
	s_add_u32 m0, 0, s49                                       // 000000003670: 807C3180
	v_mfma_i32_16x16x32_i8 v[92:95], a[88:89], a[24:25], v[92:95]// 000000003674: D3D7005C 1D723158
	v_mfma_i32_16x16x32_i8 v[92:95], a[90:91], a[26:27], v[92:95]// 00000000367C: D3D7005C 1D72355A
	v_mfma_i32_16x16x32_i8 v[92:95], a[92:93], a[28:29], v[92:95]// 000000003684: D3D7005C 1D72395C
	v_mfma_i32_16x16x32_i8 v[92:95], a[94:95], a[30:31], v[92:95]// 00000000368C: D3D7005C 1D723D5E
	v_mfma_i32_16x16x32_i8 v[96:99], a[88:89], a[32:33], v[96:99]// 000000003694: D3D70060 1D824158
	v_mfma_i32_16x16x32_i8 v[96:99], a[90:91], a[34:35], v[96:99]// 00000000369C: D3D70060 1D82455A
	s_add_u32 s60, 0x80, s80                                   // 0000000036A4: 803C50FF 00000080
	s_cmp_lt_u32 s60, s81                                      // 0000000036AC: BF0A513C
	s_cselect_b32 s83, s83, 0                                  // 0000000036B0: 85538053
	v_mfma_i32_16x16x32_i8 v[96:99], a[92:93], a[36:37], v[96:99]// 0000000036B4: D3D70060 1D82495C
	v_mfma_i32_16x16x32_i8 v[96:99], a[94:95], a[38:39], v[96:99]// 0000000036BC: D3D70060 1D824D5E
	s_waitcnt vmcnt(10)                                        // 0000000036C4: BF8C0F7A
	v_mfma_i32_16x16x32_i8 v[100:103], a[96:97], a[0:1], v[100:103]// 0000000036C8: D3D70064 1D920160
	v_mfma_i32_16x16x32_i8 v[100:103], a[98:99], a[2:3], v[100:103]// 0000000036D0: D3D70064 1D920562
	buffer_load_dwordx4 a[80:83], v58, s[24:27], 0 offen       // 0000000036D8: E05C1000 8086503A
	v_mfma_i32_16x16x32_i8 v[100:103], a[100:101], a[4:5], v[100:103]// 0000000036E0: D3D70064 1D920964
	v_mfma_i32_16x16x32_i8 v[100:103], a[102:103], a[6:7], v[100:103]// 0000000036E8: D3D70064 1D920D66
	ds_read_b128 a[40:43], v2 offset:10368                     // 0000000036F0: DBFE2880 28000002
	ds_read_b128 a[44:47], v2 offset:10432                     // 0000000036F8: DBFE28C0 2C000002
	v_mfma_i32_16x16x32_i8 v[120:123], a[104:105], a[0:1], v[120:123]// 000000003700: D3D70078 1DE20168
	v_mfma_i32_16x16x32_i8 v[120:123], a[106:107], a[2:3], v[120:123]// 000000003708: D3D70078 1DE2056A
	buffer_load_dwordx4 a[84:87], v58, s[24:27], 0 offen offset:1024// 000000003710: E05C1400 8086543A
	v_mfma_i32_16x16x32_i8 v[120:123], a[108:109], a[4:5], v[120:123]// 000000003718: D3D70078 1DE2096C
	v_mfma_i32_16x16x32_i8 v[120:123], a[110:111], a[6:7], v[120:123]// 000000003720: D3D70078 1DE20D6E
	ds_read_b128 a[48:51], v2 offset:10880                     // 000000003728: DBFE2A80 30000002
	ds_read_b128 a[52:55], v2 offset:10944                     // 000000003730: DBFE2AC0 34000002
	v_mfma_i32_16x16x32_i8 v[104:107], a[96:97], a[8:9], v[104:107]// 000000003738: D3D70068 1DA21160
	v_mfma_i32_16x16x32_i8 v[104:107], a[98:99], a[10:11], v[104:107]// 000000003740: D3D70068 1DA21562
	buffer_load_dwordx4 a[88:91], v59, s[24:27], 0 offen       // 000000003748: E05C1000 8086583B
	v_mfma_i32_16x16x32_i8 v[104:107], a[100:101], a[12:13], v[104:107]// 000000003750: D3D70068 1DA21964
	v_mfma_i32_16x16x32_i8 v[104:107], a[102:103], a[14:15], v[104:107]// 000000003758: D3D70068 1DA21D66
	ds_read_b128 a[56:59], v2 offset:11392                     // 000000003760: DBFE2C80 38000002
	ds_read_b128 a[60:63], v2 offset:11456                     // 000000003768: DBFE2CC0 3C000002
	v_mfma_i32_16x16x32_i8 v[124:127], a[104:105], a[8:9], v[124:127]// 000000003770: D3D7007C 1DF21168
	v_mfma_i32_16x16x32_i8 v[124:127], a[106:107], a[10:11], v[124:127]// 000000003778: D3D7007C 1DF2156A
	buffer_load_dwordx4 a[92:95], v59, s[24:27], 0 offen offset:1024// 000000003780: E05C1400 80865C3B
	v_mfma_i32_16x16x32_i8 v[124:127], a[108:109], a[12:13], v[124:127]// 000000003788: D3D7007C 1DF2196C
	v_mfma_i32_16x16x32_i8 v[124:127], a[110:111], a[14:15], v[124:127]// 000000003790: D3D7007C 1DF21D6E
	ds_read_b128 a[64:67], v2 offset:11904                     // 000000003798: DBFE2E80 40000002
	ds_read_b128 a[68:71], v2 offset:11968                     // 0000000037A0: DBFE2EC0 44000002
	v_mfma_i32_16x16x32_i8 v[108:111], a[96:97], a[16:17], v[108:111]// 0000000037A8: D3D7006C 1DB22160
	v_mfma_i32_16x16x32_i8 v[108:111], a[98:99], a[18:19], v[108:111]// 0000000037B0: D3D7006C 1DB22562
	v_mfma_i32_16x16x32_i8 v[108:111], a[100:101], a[20:21], v[108:111]// 0000000037B8: D3D7006C 1DB22964
	v_mfma_i32_16x16x32_i8 v[108:111], a[102:103], a[22:23], v[108:111]// 0000000037C0: D3D7006C 1DB22D66
	ds_read_b128 a[72:75], v2 offset:12416                     // 0000000037C8: DBFE3080 48000002
	ds_read_b128 a[76:79], v2 offset:12480                     // 0000000037D0: DBFE30C0 4C000002
	v_mfma_i32_16x16x32_i8 v[128:131], a[104:105], a[16:17], v[128:131]// 0000000037D8: D3D70080 1E022168
	v_mfma_i32_16x16x32_i8 v[128:131], a[106:107], a[18:19], v[128:131]// 0000000037E0: D3D70080 1E02256A
	v_mfma_i32_16x16x32_i8 v[128:131], a[108:109], a[20:21], v[128:131]// 0000000037E8: D3D70080 1E02296C
	v_mfma_i32_16x16x32_i8 v[128:131], a[110:111], a[22:23], v[128:131]// 0000000037F0: D3D70080 1E022D6E
	v_mfma_i32_16x16x32_i8 v[112:115], a[96:97], a[24:25], v[112:115]// 0000000037F8: D3D70070 1DC23160
	v_mfma_i32_16x16x32_i8 v[112:115], a[98:99], a[26:27], v[112:115]// 000000003800: D3D70070 1DC23562
	v_mfma_i32_16x16x32_i8 v[112:115], a[100:101], a[28:29], v[112:115]// 000000003808: D3D70070 1DC23964
	v_mfma_i32_16x16x32_i8 v[112:115], a[102:103], a[30:31], v[112:115]// 000000003810: D3D70070 1DC23D66
	v_mfma_i32_16x16x32_i8 v[132:135], a[104:105], a[24:25], v[132:135]// 000000003818: D3D70084 1E123168
	v_mfma_i32_16x16x32_i8 v[132:135], a[106:107], a[26:27], v[132:135]// 000000003820: D3D70084 1E12356A
	v_mfma_i32_16x16x32_i8 v[132:135], a[108:109], a[28:29], v[132:135]// 000000003828: D3D70084 1E12396C
	v_mfma_i32_16x16x32_i8 v[132:135], a[110:111], a[30:31], v[132:135]// 000000003830: D3D70084 1E123D6E
	v_mfma_i32_16x16x32_i8 v[116:119], a[96:97], a[32:33], v[116:119]// 000000003838: D3D70074 1DD24160
	v_mfma_i32_16x16x32_i8 v[116:119], a[98:99], a[34:35], v[116:119]// 000000003840: D3D70074 1DD24562
	v_mfma_i32_16x16x32_i8 v[116:119], a[100:101], a[36:37], v[116:119]// 000000003848: D3D70074 1DD24964
	s_add_u32 s60, 0x180, s80                                  // 000000003850: 803C50FF 00000180
	s_cmp_lt_u32 s60, s81                                      // 000000003858: BF0A513C
	s_cselect_b32 s57, s57, 0                                  // 00000000385C: 85398039
	v_mfma_i32_16x16x32_i8 v[116:119], a[102:103], a[38:39], v[116:119]// 000000003860: D3D70074 1DD24D66
	s_add_u32 s60, 0x100, s80                                  // 000000003868: 803C50FF 00000100
	s_cmp_lt_u32 s60, s81                                      // 000000003870: BF0A513C
	s_cselect_b32 s58, s58, 0                                  // 000000003874: 853A803A
	v_mfma_i32_16x16x32_i8 v[136:139], a[104:105], a[32:33], v[136:139]// 000000003878: D3D70088 1E224168
	s_add_u32 s24, s58, s24                                    // 000000003880: 8018183A
	s_addc_u32 s25, 0, s25                                     // 000000003884: 82191980
	v_mfma_i32_16x16x32_i8 v[136:139], a[106:107], a[34:35], v[136:139]// 000000003888: D3D70088 1E22456A
	s_add_u32 s20, s57, s20                                    // 000000003890: 80141439
	s_addc_u32 s21, 0, s21                                     // 000000003894: 82151580
	v_mfma_i32_16x16x32_i8 v[136:139], a[108:109], a[36:37], v[136:139]// 000000003898: D3D70088 1E22496C
	s_add_u32 s84, s83, s84                                    // 0000000038A0: 80545453
	s_addc_u32 s85, 0, s85                                     // 0000000038A4: 82555580
	v_mfma_i32_16x16x32_i8 v[136:139], a[110:111], a[38:39], v[136:139]// 0000000038A8: D3D70088 1E224D6E
	s_addk_i32 s80, 0x80                                       // 0000000038B0: B7500080
	s_cmp_lt_i32 s80, s81                                      // 0000000038B4: BF045150
	s_cbranch_scc0 label_04B4                                  // 0000000038B8: BF840105
	s_waitcnt vmcnt(2) lgkmcnt(0)                              // 0000000038BC: BF8C0072
	s_barrier                                                  // 0000000038C0: BF8A0000
	v_mfma_i32_16x16x32_i8 v[60:63], a[80:81], a[40:41], v[60:63]// 0000000038C4: D3D7003C 1CF25150
	v_mfma_i32_16x16x32_i8 v[60:63], a[82:83], a[42:43], v[60:63]// 0000000038CC: D3D7003C 1CF25552
	buffer_load_dwordx4 a[96:99], v58, s[84:87], 0 offen       // 0000000038D4: E05C1000 8095603A
	v_mfma_i32_16x16x32_i8 v[60:63], a[84:85], a[44:45], v[60:63]// 0000000038DC: D3D7003C 1CF25954
	v_mfma_i32_16x16x32_i8 v[60:63], a[86:87], a[46:47], v[60:63]// 0000000038E4: D3D7003C 1CF25D56
	v_mfma_i32_16x16x32_i8 v[64:67], a[80:81], a[48:49], v[64:67]// 0000000038EC: D3D70040 1D026150
	v_mfma_i32_16x16x32_i8 v[64:67], a[82:83], a[50:51], v[64:67]// 0000000038F4: D3D70040 1D026552
	buffer_load_dwordx4 a[100:103], v58, s[84:87], 0 offen offset:1024// 0000000038FC: E05C1400 8095643A
	v_mfma_i32_16x16x32_i8 v[64:67], a[84:85], a[52:53], v[64:67]// 000000003904: D3D70040 1D026954
	v_mfma_i32_16x16x32_i8 v[64:67], a[86:87], a[54:55], v[64:67]// 00000000390C: D3D70040 1D026D56
	v_mfma_i32_16x16x32_i8 v[68:71], a[80:81], a[56:57], v[68:71]// 000000003914: D3D70044 1D127150
	v_mfma_i32_16x16x32_i8 v[68:71], a[82:83], a[58:59], v[68:71]// 00000000391C: D3D70044 1D127552
	buffer_load_dwordx4 a[104:107], v59, s[84:87], 0 offen     // 000000003924: E05C1000 8095683B
	v_mfma_i32_16x16x32_i8 v[68:71], a[84:85], a[60:61], v[68:71]// 00000000392C: D3D70044 1D127954
	v_mfma_i32_16x16x32_i8 v[68:71], a[86:87], a[62:63], v[68:71]// 000000003934: D3D70044 1D127D56
	v_mfma_i32_16x16x32_i8 v[72:75], a[80:81], a[64:65], v[72:75]// 00000000393C: D3D70048 1D228150
	v_mfma_i32_16x16x32_i8 v[72:75], a[82:83], a[66:67], v[72:75]// 000000003944: D3D70048 1D228552
	buffer_load_dwordx4 a[108:111], v59, s[84:87], 0 offen offset:1024// 00000000394C: E05C1400 80956C3B
	buffer_load_dword v48, s[20:23], 0 offen lds               // 000000003954: E0511000 80050030
	s_add_u32 m0, 0x100, s49                                   // 00000000395C: 807C31FF 00000100
	v_mfma_i32_16x16x32_i8 v[72:75], a[84:85], a[68:69], v[72:75]// 000000003964: D3D70048 1D228954
	v_mfma_i32_16x16x32_i8 v[72:75], a[86:87], a[70:71], v[72:75]// 00000000396C: D3D70048 1D228D56
	buffer_load_dword v49, s[20:23], 0 offen lds               // 000000003974: E0511000 80050031
	s_add_u32 m0, 0x200, s49                                   // 00000000397C: 807C31FF 00000200
	v_mfma_i32_16x16x32_i8 v[76:79], a[80:81], a[72:73], v[76:79]// 000000003984: D3D7004C 1D329150
	v_mfma_i32_16x16x32_i8 v[76:79], a[82:83], a[74:75], v[76:79]// 00000000398C: D3D7004C 1D329552
	buffer_load_dword v50, s[20:23], 0 offen lds               // 000000003994: E0511000 80050032
	s_add_u32 m0, 0x300, s49                                   // 00000000399C: 807C31FF 00000300
	v_mfma_i32_16x16x32_i8 v[76:79], a[84:85], a[76:77], v[76:79]// 0000000039A4: D3D7004C 1D329954
	v_mfma_i32_16x16x32_i8 v[76:79], a[86:87], a[78:79], v[76:79]// 0000000039AC: D3D7004C 1D329D56
	buffer_load_dword v51, s[20:23], 0 offen lds               // 0000000039B4: E0511000 80050033
	s_add_u32 m0, 0x400, s49                                   // 0000000039BC: 807C31FF 00000400
	s_waitcnt vmcnt(8)                                         // 0000000039C4: BF8C0F78
	v_mfma_i32_16x16x32_i8 v[80:83], a[88:89], a[40:41], v[80:83]// 0000000039C8: D3D70050 1D425158
	v_mfma_i32_16x16x32_i8 v[80:83], a[90:91], a[42:43], v[80:83]// 0000000039D0: D3D70050 1D42555A
	buffer_load_dword v52, s[20:23], 0 offen lds               // 0000000039D8: E0511000 80050034
	s_add_u32 m0, 0x500, s49                                   // 0000000039E0: 807C31FF 00000500
	v_mfma_i32_16x16x32_i8 v[80:83], a[92:93], a[44:45], v[80:83]// 0000000039E8: D3D70050 1D42595C
	v_mfma_i32_16x16x32_i8 v[80:83], a[94:95], a[46:47], v[80:83]// 0000000039F0: D3D70050 1D425D5E
	buffer_load_dword v53, s[20:23], 0 offen lds               // 0000000039F8: E0511000 80050035
	s_add_u32 m0, 0x600, s49                                   // 000000003A00: 807C31FF 00000600
	v_mfma_i32_16x16x32_i8 v[84:87], a[88:89], a[48:49], v[84:87]// 000000003A08: D3D70054 1D526158
	v_mfma_i32_16x16x32_i8 v[84:87], a[90:91], a[50:51], v[84:87]// 000000003A10: D3D70054 1D52655A
	buffer_load_dword v54, s[20:23], 0 offen lds               // 000000003A18: E0511000 80050036
	s_add_u32 m0, 0x700, s49                                   // 000000003A20: 807C31FF 00000700
	v_mfma_i32_16x16x32_i8 v[84:87], a[92:93], a[52:53], v[84:87]// 000000003A28: D3D70054 1D52695C
	v_mfma_i32_16x16x32_i8 v[84:87], a[94:95], a[54:55], v[84:87]// 000000003A30: D3D70054 1D526D5E
	buffer_load_dword v55, s[20:23], 0 offen lds               // 000000003A38: E0511000 80050037
	s_add_u32 m0, 0x800, s49                                   // 000000003A40: 807C31FF 00000800
	v_mfma_i32_16x16x32_i8 v[88:91], a[88:89], a[56:57], v[88:91]// 000000003A48: D3D70058 1D627158
	v_mfma_i32_16x16x32_i8 v[88:91], a[90:91], a[58:59], v[88:91]// 000000003A50: D3D70058 1D62755A
	buffer_load_dword v56, s[20:23], 0 offen lds               // 000000003A58: E0511000 80050038
	s_add_u32 m0, 0x900, s49                                   // 000000003A60: 807C31FF 00000900
	v_mfma_i32_16x16x32_i8 v[88:91], a[92:93], a[60:61], v[88:91]// 000000003A68: D3D70058 1D62795C
	v_mfma_i32_16x16x32_i8 v[88:91], a[94:95], a[62:63], v[88:91]// 000000003A70: D3D70058 1D627D5E
	buffer_load_dword v57, s[20:23], 0 offen lds               // 000000003A78: E0511000 80050039
	s_add_u32 m0, 0, s48                                       // 000000003A80: 807C3080
	v_mfma_i32_16x16x32_i8 v[92:95], a[88:89], a[64:65], v[92:95]// 000000003A84: D3D7005C 1D728158
	v_mfma_i32_16x16x32_i8 v[92:95], a[90:91], a[66:67], v[92:95]// 000000003A8C: D3D7005C 1D72855A
	v_mfma_i32_16x16x32_i8 v[92:95], a[92:93], a[68:69], v[92:95]// 000000003A94: D3D7005C 1D72895C
	v_mfma_i32_16x16x32_i8 v[92:95], a[94:95], a[70:71], v[92:95]// 000000003A9C: D3D7005C 1D728D5E
	v_mfma_i32_16x16x32_i8 v[96:99], a[88:89], a[72:73], v[96:99]// 000000003AA4: D3D70060 1D829158
	v_mfma_i32_16x16x32_i8 v[96:99], a[90:91], a[74:75], v[96:99]// 000000003AAC: D3D70060 1D82955A
	s_add_u32 s60, 0x80, s80                                   // 000000003AB4: 803C50FF 00000080
	s_cmp_lt_u32 s60, s81                                      // 000000003ABC: BF0A513C
	s_cselect_b32 s83, s83, 0                                  // 000000003AC0: 85538053
	v_mfma_i32_16x16x32_i8 v[96:99], a[92:93], a[76:77], v[96:99]// 000000003AC4: D3D70060 1D82995C
	v_mfma_i32_16x16x32_i8 v[96:99], a[94:95], a[78:79], v[96:99]// 000000003ACC: D3D70060 1D829D5E
	s_waitcnt vmcnt(10)                                        // 000000003AD4: BF8C0F7A
	v_mfma_i32_16x16x32_i8 v[100:103], a[96:97], a[40:41], v[100:103]// 000000003AD8: D3D70064 1D925160
	v_mfma_i32_16x16x32_i8 v[100:103], a[98:99], a[42:43], v[100:103]// 000000003AE0: D3D70064 1D925562
	buffer_load_dwordx4 a[80:83], v58, s[24:27], 0 offen       // 000000003AE8: E05C1000 8086503A
	v_mfma_i32_16x16x32_i8 v[100:103], a[100:101], a[44:45], v[100:103]// 000000003AF0: D3D70064 1D925964
	v_mfma_i32_16x16x32_i8 v[100:103], a[102:103], a[46:47], v[100:103]// 000000003AF8: D3D70064 1D925D66
	ds_read_b128 a[0:3], v2                                    // 000000003B00: DBFE0000 00000002
	ds_read_b128 a[4:7], v2 offset:64                          // 000000003B08: DBFE0040 04000002
	v_mfma_i32_16x16x32_i8 v[120:123], a[104:105], a[40:41], v[120:123]// 000000003B10: D3D70078 1DE25168
	v_mfma_i32_16x16x32_i8 v[120:123], a[106:107], a[42:43], v[120:123]// 000000003B18: D3D70078 1DE2556A
	buffer_load_dwordx4 a[84:87], v58, s[24:27], 0 offen offset:1024// 000000003B20: E05C1400 8086543A
	v_mfma_i32_16x16x32_i8 v[120:123], a[108:109], a[44:45], v[120:123]// 000000003B28: D3D70078 1DE2596C
	v_mfma_i32_16x16x32_i8 v[120:123], a[110:111], a[46:47], v[120:123]// 000000003B30: D3D70078 1DE25D6E
	ds_read_b128 a[8:11], v2 offset:512                        // 000000003B38: DBFE0200 08000002
	ds_read_b128 a[12:15], v2 offset:576                       // 000000003B40: DBFE0240 0C000002
	v_mfma_i32_16x16x32_i8 v[104:107], a[96:97], a[48:49], v[104:107]// 000000003B48: D3D70068 1DA26160
	v_mfma_i32_16x16x32_i8 v[104:107], a[98:99], a[50:51], v[104:107]// 000000003B50: D3D70068 1DA26562
	buffer_load_dwordx4 a[88:91], v59, s[24:27], 0 offen       // 000000003B58: E05C1000 8086583B
	v_mfma_i32_16x16x32_i8 v[104:107], a[100:101], a[52:53], v[104:107]// 000000003B60: D3D70068 1DA26964
	v_mfma_i32_16x16x32_i8 v[104:107], a[102:103], a[54:55], v[104:107]// 000000003B68: D3D70068 1DA26D66
	ds_read_b128 a[16:19], v2 offset:1024                      // 000000003B70: DBFE0400 10000002
	ds_read_b128 a[20:23], v2 offset:1088                      // 000000003B78: DBFE0440 14000002
	v_mfma_i32_16x16x32_i8 v[124:127], a[104:105], a[48:49], v[124:127]// 000000003B80: D3D7007C 1DF26168
	v_mfma_i32_16x16x32_i8 v[124:127], a[106:107], a[50:51], v[124:127]// 000000003B88: D3D7007C 1DF2656A
	buffer_load_dwordx4 a[92:95], v59, s[24:27], 0 offen offset:1024// 000000003B90: E05C1400 80865C3B
	v_mfma_i32_16x16x32_i8 v[124:127], a[108:109], a[52:53], v[124:127]// 000000003B98: D3D7007C 1DF2696C
	v_mfma_i32_16x16x32_i8 v[124:127], a[110:111], a[54:55], v[124:127]// 000000003BA0: D3D7007C 1DF26D6E
	ds_read_b128 a[24:27], v2 offset:1536                      // 000000003BA8: DBFE0600 18000002
	ds_read_b128 a[28:31], v2 offset:1600                      // 000000003BB0: DBFE0640 1C000002
	v_mfma_i32_16x16x32_i8 v[108:111], a[96:97], a[56:57], v[108:111]// 000000003BB8: D3D7006C 1DB27160
	v_mfma_i32_16x16x32_i8 v[108:111], a[98:99], a[58:59], v[108:111]// 000000003BC0: D3D7006C 1DB27562
	v_mfma_i32_16x16x32_i8 v[108:111], a[100:101], a[60:61], v[108:111]// 000000003BC8: D3D7006C 1DB27964
	v_mfma_i32_16x16x32_i8 v[108:111], a[102:103], a[62:63], v[108:111]// 000000003BD0: D3D7006C 1DB27D66
	ds_read_b128 a[32:35], v2 offset:2048                      // 000000003BD8: DBFE0800 20000002
	ds_read_b128 a[36:39], v2 offset:2112                      // 000000003BE0: DBFE0840 24000002
	v_mfma_i32_16x16x32_i8 v[128:131], a[104:105], a[56:57], v[128:131]// 000000003BE8: D3D70080 1E027168
	v_mfma_i32_16x16x32_i8 v[128:131], a[106:107], a[58:59], v[128:131]// 000000003BF0: D3D70080 1E02756A
	v_mfma_i32_16x16x32_i8 v[128:131], a[108:109], a[60:61], v[128:131]// 000000003BF8: D3D70080 1E02796C
	v_mfma_i32_16x16x32_i8 v[128:131], a[110:111], a[62:63], v[128:131]// 000000003C00: D3D70080 1E027D6E
	v_mfma_i32_16x16x32_i8 v[112:115], a[96:97], a[64:65], v[112:115]// 000000003C08: D3D70070 1DC28160
	v_mfma_i32_16x16x32_i8 v[112:115], a[98:99], a[66:67], v[112:115]// 000000003C10: D3D70070 1DC28562
	v_mfma_i32_16x16x32_i8 v[112:115], a[100:101], a[68:69], v[112:115]// 000000003C18: D3D70070 1DC28964
	v_mfma_i32_16x16x32_i8 v[112:115], a[102:103], a[70:71], v[112:115]// 000000003C20: D3D70070 1DC28D66
	v_mfma_i32_16x16x32_i8 v[132:135], a[104:105], a[64:65], v[132:135]// 000000003C28: D3D70084 1E128168
	v_mfma_i32_16x16x32_i8 v[132:135], a[106:107], a[66:67], v[132:135]// 000000003C30: D3D70084 1E12856A
	v_mfma_i32_16x16x32_i8 v[132:135], a[108:109], a[68:69], v[132:135]// 000000003C38: D3D70084 1E12896C
	v_mfma_i32_16x16x32_i8 v[132:135], a[110:111], a[70:71], v[132:135]// 000000003C40: D3D70084 1E128D6E
	v_mfma_i32_16x16x32_i8 v[116:119], a[96:97], a[72:73], v[116:119]// 000000003C48: D3D70074 1DD29160
	v_mfma_i32_16x16x32_i8 v[116:119], a[98:99], a[74:75], v[116:119]// 000000003C50: D3D70074 1DD29562
	v_mfma_i32_16x16x32_i8 v[116:119], a[100:101], a[76:77], v[116:119]// 000000003C58: D3D70074 1DD29964
	s_add_u32 s60, 0x180, s80                                  // 000000003C60: 803C50FF 00000180
	s_cmp_lt_u32 s60, s81                                      // 000000003C68: BF0A513C
	s_cselect_b32 s57, s57, 0                                  // 000000003C6C: 85398039
	v_mfma_i32_16x16x32_i8 v[116:119], a[102:103], a[78:79], v[116:119]// 000000003C70: D3D70074 1DD29D66
	s_add_u32 s60, 0x100, s80                                  // 000000003C78: 803C50FF 00000100
	s_cmp_lt_u32 s60, s81                                      // 000000003C80: BF0A513C
	s_cselect_b32 s58, s58, 0                                  // 000000003C84: 853A803A
	v_mfma_i32_16x16x32_i8 v[136:139], a[104:105], a[72:73], v[136:139]// 000000003C88: D3D70088 1E229168
	s_add_u32 s24, s58, s24                                    // 000000003C90: 8018183A
	s_addc_u32 s25, 0, s25                                     // 000000003C94: 82191980
	v_mfma_i32_16x16x32_i8 v[136:139], a[106:107], a[74:75], v[136:139]// 000000003C98: D3D70088 1E22956A
	s_add_u32 s20, s57, s20                                    // 000000003CA0: 80141439
	s_addc_u32 s21, 0, s21                                     // 000000003CA4: 82151580
	v_mfma_i32_16x16x32_i8 v[136:139], a[108:109], a[76:77], v[136:139]// 000000003CA8: D3D70088 1E22996C
	s_add_u32 s84, s83, s84                                    // 000000003CB0: 80545453
	s_addc_u32 s85, 0, s85                                     // 000000003CB4: 82555580
	v_mfma_i32_16x16x32_i8 v[136:139], a[110:111], a[78:79], v[136:139]// 000000003CB8: D3D70088 1E229D6E
	s_addk_i32 s80, 0x80                                       // 000000003CC0: B7500080
	s_cmp_lt_i32 s80, s81                                      // 000000003CC4: BF045150
	s_cbranch_scc0 label_04B4                                  // 000000003CC8: BF840001
	s_branch label_02AB                                        // 000000003CCC: BF82FDF7

0000000000003cd0 <label_04B4>:
	v_cvt_f32_i32_e32 v60, v60                                 // 000000003CD0: 7E780B3C
	v_cvt_f32_i32_e32 v61, v61                                 // 000000003CD4: 7E7A0B3D
	v_cvt_f32_i32_e32 v62, v62                                 // 000000003CD8: 7E7C0B3E
	v_cvt_f32_i32_e32 v63, v63                                 // 000000003CDC: 7E7E0B3F
	v_mul_f32_dpp v60, v24, v60 row_newbcast:0 row_mask:0xf bank_mask:0xf// 000000003CE0: 0A7878FA FF015018
	v_mul_f32_dpp v61, v24, v61 row_newbcast:1 row_mask:0xf bank_mask:0xf// 000000003CE8: 0A7A7AFA FF015118
	v_mul_f32_dpp v62, v24, v62 row_newbcast:2 row_mask:0xf bank_mask:0xf// 000000003CF0: 0A7C7CFA FF015218
	v_mul_f32_dpp v63, v24, v63 row_newbcast:3 row_mask:0xf bank_mask:0xf// 000000003CF8: 0A7E7EFA FF015318
	v_cvt_f32_i32_e32 v64, v64                                 // 000000003D00: 7E800B40
	v_cvt_f32_i32_e32 v65, v65                                 // 000000003D04: 7E820B41
	v_cvt_f32_i32_e32 v66, v66                                 // 000000003D08: 7E840B42
	v_cvt_f32_i32_e32 v67, v67                                 // 000000003D0C: 7E860B43
	v_mul_f32_dpp v64, v24, v64 row_newbcast:0 row_mask:0xf bank_mask:0xf// 000000003D10: 0A8080FA FF015018
	v_mul_f32_dpp v65, v24, v65 row_newbcast:1 row_mask:0xf bank_mask:0xf// 000000003D18: 0A8282FA FF015118
	v_mul_f32_dpp v66, v24, v66 row_newbcast:2 row_mask:0xf bank_mask:0xf// 000000003D20: 0A8484FA FF015218
	v_mul_f32_dpp v67, v24, v67 row_newbcast:3 row_mask:0xf bank_mask:0xf// 000000003D28: 0A8686FA FF015318
	v_cvt_f32_i32_e32 v68, v68                                 // 000000003D30: 7E880B44
	v_cvt_f32_i32_e32 v69, v69                                 // 000000003D34: 7E8A0B45
	v_cvt_f32_i32_e32 v70, v70                                 // 000000003D38: 7E8C0B46
	v_cvt_f32_i32_e32 v71, v71                                 // 000000003D3C: 7E8E0B47
	v_mul_f32_dpp v68, v24, v68 row_newbcast:0 row_mask:0xf bank_mask:0xf// 000000003D40: 0A8888FA FF015018
	v_mul_f32_dpp v69, v24, v69 row_newbcast:1 row_mask:0xf bank_mask:0xf// 000000003D48: 0A8A8AFA FF015118
	v_mul_f32_dpp v70, v24, v70 row_newbcast:2 row_mask:0xf bank_mask:0xf// 000000003D50: 0A8C8CFA FF015218
	v_mul_f32_dpp v71, v24, v71 row_newbcast:3 row_mask:0xf bank_mask:0xf// 000000003D58: 0A8E8EFA FF015318
	v_cvt_f32_i32_e32 v72, v72                                 // 000000003D60: 7E900B48
	v_cvt_f32_i32_e32 v73, v73                                 // 000000003D64: 7E920B49
	v_cvt_f32_i32_e32 v74, v74                                 // 000000003D68: 7E940B4A
	v_cvt_f32_i32_e32 v75, v75                                 // 000000003D6C: 7E960B4B
	v_mul_f32_dpp v72, v24, v72 row_newbcast:0 row_mask:0xf bank_mask:0xf// 000000003D70: 0A9090FA FF015018
	v_mul_f32_dpp v73, v24, v73 row_newbcast:1 row_mask:0xf bank_mask:0xf// 000000003D78: 0A9292FA FF015118
	v_mul_f32_dpp v74, v24, v74 row_newbcast:2 row_mask:0xf bank_mask:0xf// 000000003D80: 0A9494FA FF015218
	v_mul_f32_dpp v75, v24, v75 row_newbcast:3 row_mask:0xf bank_mask:0xf// 000000003D88: 0A9696FA FF015318
	v_cvt_f32_i32_e32 v76, v76                                 // 000000003D90: 7E980B4C
	v_cvt_f32_i32_e32 v77, v77                                 // 000000003D94: 7E9A0B4D
	v_cvt_f32_i32_e32 v78, v78                                 // 000000003D98: 7E9C0B4E
	v_cvt_f32_i32_e32 v79, v79                                 // 000000003D9C: 7E9E0B4F
	v_mul_f32_dpp v76, v24, v76 row_newbcast:0 row_mask:0xf bank_mask:0xf// 000000003DA0: 0A9898FA FF015018
	v_mul_f32_dpp v77, v24, v77 row_newbcast:1 row_mask:0xf bank_mask:0xf// 000000003DA8: 0A9A9AFA FF015118
	v_mul_f32_dpp v78, v24, v78 row_newbcast:2 row_mask:0xf bank_mask:0xf// 000000003DB0: 0A9C9CFA FF015218
	v_mul_f32_dpp v79, v24, v79 row_newbcast:3 row_mask:0xf bank_mask:0xf// 000000003DB8: 0A9E9EFA FF015318
	v_cvt_f32_i32_e32 v80, v80                                 // 000000003DC0: 7EA00B50
	v_cvt_f32_i32_e32 v81, v81                                 // 000000003DC4: 7EA20B51
	v_cvt_f32_i32_e32 v82, v82                                 // 000000003DC8: 7EA40B52
	v_cvt_f32_i32_e32 v83, v83                                 // 000000003DCC: 7EA60B53
	v_mul_f32_dpp v80, v24, v80 row_newbcast:4 row_mask:0xf bank_mask:0xf// 000000003DD0: 0AA0A0FA FF015418
	v_mul_f32_dpp v81, v24, v81 row_newbcast:5 row_mask:0xf bank_mask:0xf// 000000003DD8: 0AA2A2FA FF015518
	v_mul_f32_dpp v82, v24, v82 row_newbcast:6 row_mask:0xf bank_mask:0xf// 000000003DE0: 0AA4A4FA FF015618
	v_mul_f32_dpp v83, v24, v83 row_newbcast:7 row_mask:0xf bank_mask:0xf// 000000003DE8: 0AA6A6FA FF015718
	v_cvt_f32_i32_e32 v84, v84                                 // 000000003DF0: 7EA80B54
	v_cvt_f32_i32_e32 v85, v85                                 // 000000003DF4: 7EAA0B55
	v_cvt_f32_i32_e32 v86, v86                                 // 000000003DF8: 7EAC0B56
	v_cvt_f32_i32_e32 v87, v87                                 // 000000003DFC: 7EAE0B57
	v_mul_f32_dpp v84, v24, v84 row_newbcast:4 row_mask:0xf bank_mask:0xf// 000000003E00: 0AA8A8FA FF015418
	v_mul_f32_dpp v85, v24, v85 row_newbcast:5 row_mask:0xf bank_mask:0xf// 000000003E08: 0AAAAAFA FF015518
	v_mul_f32_dpp v86, v24, v86 row_newbcast:6 row_mask:0xf bank_mask:0xf// 000000003E10: 0AACACFA FF015618
	v_mul_f32_dpp v87, v24, v87 row_newbcast:7 row_mask:0xf bank_mask:0xf// 000000003E18: 0AAEAEFA FF015718
	v_cvt_f32_i32_e32 v88, v88                                 // 000000003E20: 7EB00B58
	v_cvt_f32_i32_e32 v89, v89                                 // 000000003E24: 7EB20B59
	v_cvt_f32_i32_e32 v90, v90                                 // 000000003E28: 7EB40B5A
	v_cvt_f32_i32_e32 v91, v91                                 // 000000003E2C: 7EB60B5B
	v_mul_f32_dpp v88, v24, v88 row_newbcast:4 row_mask:0xf bank_mask:0xf// 000000003E30: 0AB0B0FA FF015418
	v_mul_f32_dpp v89, v24, v89 row_newbcast:5 row_mask:0xf bank_mask:0xf// 000000003E38: 0AB2B2FA FF015518
	v_mul_f32_dpp v90, v24, v90 row_newbcast:6 row_mask:0xf bank_mask:0xf// 000000003E40: 0AB4B4FA FF015618
	v_mul_f32_dpp v91, v24, v91 row_newbcast:7 row_mask:0xf bank_mask:0xf// 000000003E48: 0AB6B6FA FF015718
	v_cvt_f32_i32_e32 v92, v92                                 // 000000003E50: 7EB80B5C
	v_cvt_f32_i32_e32 v93, v93                                 // 000000003E54: 7EBA0B5D
	v_cvt_f32_i32_e32 v94, v94                                 // 000000003E58: 7EBC0B5E
	v_cvt_f32_i32_e32 v95, v95                                 // 000000003E5C: 7EBE0B5F
	v_mul_f32_dpp v92, v24, v92 row_newbcast:4 row_mask:0xf bank_mask:0xf// 000000003E60: 0AB8B8FA FF015418
	v_mul_f32_dpp v93, v24, v93 row_newbcast:5 row_mask:0xf bank_mask:0xf// 000000003E68: 0ABABAFA FF015518
	v_mul_f32_dpp v94, v24, v94 row_newbcast:6 row_mask:0xf bank_mask:0xf// 000000003E70: 0ABCBCFA FF015618
	v_mul_f32_dpp v95, v24, v95 row_newbcast:7 row_mask:0xf bank_mask:0xf// 000000003E78: 0ABEBEFA FF015718
	v_cvt_f32_i32_e32 v96, v96                                 // 000000003E80: 7EC00B60
	v_cvt_f32_i32_e32 v97, v97                                 // 000000003E84: 7EC20B61
	v_cvt_f32_i32_e32 v98, v98                                 // 000000003E88: 7EC40B62
	v_cvt_f32_i32_e32 v99, v99                                 // 000000003E8C: 7EC60B63
	v_mul_f32_dpp v96, v24, v96 row_newbcast:4 row_mask:0xf bank_mask:0xf// 000000003E90: 0AC0C0FA FF015418
	v_mul_f32_dpp v97, v24, v97 row_newbcast:5 row_mask:0xf bank_mask:0xf// 000000003E98: 0AC2C2FA FF015518
	v_mul_f32_dpp v98, v24, v98 row_newbcast:6 row_mask:0xf bank_mask:0xf// 000000003EA0: 0AC4C4FA FF015618
	v_mul_f32_dpp v99, v24, v99 row_newbcast:7 row_mask:0xf bank_mask:0xf// 000000003EA8: 0AC6C6FA FF015718
	v_cvt_f32_i32_e32 v100, v100                               // 000000003EB0: 7EC80B64
	v_cvt_f32_i32_e32 v101, v101                               // 000000003EB4: 7ECA0B65
	v_cvt_f32_i32_e32 v102, v102                               // 000000003EB8: 7ECC0B66
	v_cvt_f32_i32_e32 v103, v103                               // 000000003EBC: 7ECE0B67
	v_mul_f32_dpp v100, v26, v100 row_newbcast:0 row_mask:0xf bank_mask:0xf// 000000003EC0: 0AC8C8FA FF01501A
	v_mul_f32_dpp v101, v26, v101 row_newbcast:1 row_mask:0xf bank_mask:0xf// 000000003EC8: 0ACACAFA FF01511A
	v_mul_f32_dpp v102, v26, v102 row_newbcast:2 row_mask:0xf bank_mask:0xf// 000000003ED0: 0ACCCCFA FF01521A
	v_mul_f32_dpp v103, v26, v103 row_newbcast:3 row_mask:0xf bank_mask:0xf// 000000003ED8: 0ACECEFA FF01531A
	v_cvt_f32_i32_e32 v104, v104                               // 000000003EE0: 7ED00B68
	v_cvt_f32_i32_e32 v105, v105                               // 000000003EE4: 7ED20B69
	v_cvt_f32_i32_e32 v106, v106                               // 000000003EE8: 7ED40B6A
	v_cvt_f32_i32_e32 v107, v107                               // 000000003EEC: 7ED60B6B
	v_mul_f32_dpp v104, v26, v104 row_newbcast:0 row_mask:0xf bank_mask:0xf// 000000003EF0: 0AD0D0FA FF01501A
	v_mul_f32_dpp v105, v26, v105 row_newbcast:1 row_mask:0xf bank_mask:0xf// 000000003EF8: 0AD2D2FA FF01511A
	v_mul_f32_dpp v106, v26, v106 row_newbcast:2 row_mask:0xf bank_mask:0xf// 000000003F00: 0AD4D4FA FF01521A
	v_mul_f32_dpp v107, v26, v107 row_newbcast:3 row_mask:0xf bank_mask:0xf// 000000003F08: 0AD6D6FA FF01531A
	v_cvt_f32_i32_e32 v108, v108                               // 000000003F10: 7ED80B6C
	v_cvt_f32_i32_e32 v109, v109                               // 000000003F14: 7EDA0B6D
	v_cvt_f32_i32_e32 v110, v110                               // 000000003F18: 7EDC0B6E
	v_cvt_f32_i32_e32 v111, v111                               // 000000003F1C: 7EDE0B6F
	v_mul_f32_dpp v108, v26, v108 row_newbcast:0 row_mask:0xf bank_mask:0xf// 000000003F20: 0AD8D8FA FF01501A
	v_mul_f32_dpp v109, v26, v109 row_newbcast:1 row_mask:0xf bank_mask:0xf// 000000003F28: 0ADADAFA FF01511A
	v_mul_f32_dpp v110, v26, v110 row_newbcast:2 row_mask:0xf bank_mask:0xf// 000000003F30: 0ADCDCFA FF01521A
	v_mul_f32_dpp v111, v26, v111 row_newbcast:3 row_mask:0xf bank_mask:0xf// 000000003F38: 0ADEDEFA FF01531A
	v_cvt_f32_i32_e32 v112, v112                               // 000000003F40: 7EE00B70
	v_cvt_f32_i32_e32 v113, v113                               // 000000003F44: 7EE20B71
	v_cvt_f32_i32_e32 v114, v114                               // 000000003F48: 7EE40B72
	v_cvt_f32_i32_e32 v115, v115                               // 000000003F4C: 7EE60B73
	v_mul_f32_dpp v112, v26, v112 row_newbcast:0 row_mask:0xf bank_mask:0xf// 000000003F50: 0AE0E0FA FF01501A
	v_mul_f32_dpp v113, v26, v113 row_newbcast:1 row_mask:0xf bank_mask:0xf// 000000003F58: 0AE2E2FA FF01511A
	v_mul_f32_dpp v114, v26, v114 row_newbcast:2 row_mask:0xf bank_mask:0xf// 000000003F60: 0AE4E4FA FF01521A
	v_mul_f32_dpp v115, v26, v115 row_newbcast:3 row_mask:0xf bank_mask:0xf// 000000003F68: 0AE6E6FA FF01531A
	v_cvt_f32_i32_e32 v116, v116                               // 000000003F70: 7EE80B74
	v_cvt_f32_i32_e32 v117, v117                               // 000000003F74: 7EEA0B75
	v_cvt_f32_i32_e32 v118, v118                               // 000000003F78: 7EEC0B76
	v_cvt_f32_i32_e32 v119, v119                               // 000000003F7C: 7EEE0B77
	v_mul_f32_dpp v116, v26, v116 row_newbcast:0 row_mask:0xf bank_mask:0xf// 000000003F80: 0AE8E8FA FF01501A
	v_mul_f32_dpp v117, v26, v117 row_newbcast:1 row_mask:0xf bank_mask:0xf// 000000003F88: 0AEAEAFA FF01511A
	v_mul_f32_dpp v118, v26, v118 row_newbcast:2 row_mask:0xf bank_mask:0xf// 000000003F90: 0AECECFA FF01521A
	v_mul_f32_dpp v119, v26, v119 row_newbcast:3 row_mask:0xf bank_mask:0xf// 000000003F98: 0AEEEEFA FF01531A
	v_cvt_f32_i32_e32 v120, v120                               // 000000003FA0: 7EF00B78
	v_cvt_f32_i32_e32 v121, v121                               // 000000003FA4: 7EF20B79
	v_cvt_f32_i32_e32 v122, v122                               // 000000003FA8: 7EF40B7A
	v_cvt_f32_i32_e32 v123, v123                               // 000000003FAC: 7EF60B7B
	v_mul_f32_dpp v120, v26, v120 row_newbcast:4 row_mask:0xf bank_mask:0xf// 000000003FB0: 0AF0F0FA FF01541A
	v_mul_f32_dpp v121, v26, v121 row_newbcast:5 row_mask:0xf bank_mask:0xf// 000000003FB8: 0AF2F2FA FF01551A
	v_mul_f32_dpp v122, v26, v122 row_newbcast:6 row_mask:0xf bank_mask:0xf// 000000003FC0: 0AF4F4FA FF01561A
	v_mul_f32_dpp v123, v26, v123 row_newbcast:7 row_mask:0xf bank_mask:0xf// 000000003FC8: 0AF6F6FA FF01571A
	v_cvt_f32_i32_e32 v124, v124                               // 000000003FD0: 7EF80B7C
	v_cvt_f32_i32_e32 v125, v125                               // 000000003FD4: 7EFA0B7D
	v_cvt_f32_i32_e32 v126, v126                               // 000000003FD8: 7EFC0B7E
	v_cvt_f32_i32_e32 v127, v127                               // 000000003FDC: 7EFE0B7F
	v_mul_f32_dpp v124, v26, v124 row_newbcast:4 row_mask:0xf bank_mask:0xf// 000000003FE0: 0AF8F8FA FF01541A
	v_mul_f32_dpp v125, v26, v125 row_newbcast:5 row_mask:0xf bank_mask:0xf// 000000003FE8: 0AFAFAFA FF01551A
	v_mul_f32_dpp v126, v26, v126 row_newbcast:6 row_mask:0xf bank_mask:0xf// 000000003FF0: 0AFCFCFA FF01561A
	v_mul_f32_dpp v127, v26, v127 row_newbcast:7 row_mask:0xf bank_mask:0xf// 000000003FF8: 0AFEFEFA FF01571A
	v_cvt_f32_i32_e32 v128, v128                               // 000000004000: 7F000B80
	v_cvt_f32_i32_e32 v129, v129                               // 000000004004: 7F020B81
	v_cvt_f32_i32_e32 v130, v130                               // 000000004008: 7F040B82
	v_cvt_f32_i32_e32 v131, v131                               // 00000000400C: 7F060B83
	v_mul_f32_dpp v128, v26, v128 row_newbcast:4 row_mask:0xf bank_mask:0xf// 000000004010: 0B0100FA FF01541A
	v_mul_f32_dpp v129, v26, v129 row_newbcast:5 row_mask:0xf bank_mask:0xf// 000000004018: 0B0302FA FF01551A
	v_mul_f32_dpp v130, v26, v130 row_newbcast:6 row_mask:0xf bank_mask:0xf// 000000004020: 0B0504FA FF01561A
	v_mul_f32_dpp v131, v26, v131 row_newbcast:7 row_mask:0xf bank_mask:0xf// 000000004028: 0B0706FA FF01571A
	v_cvt_f32_i32_e32 v132, v132                               // 000000004030: 7F080B84
	v_cvt_f32_i32_e32 v133, v133                               // 000000004034: 7F0A0B85
	v_cvt_f32_i32_e32 v134, v134                               // 000000004038: 7F0C0B86
	v_cvt_f32_i32_e32 v135, v135                               // 00000000403C: 7F0E0B87
	v_mul_f32_dpp v132, v26, v132 row_newbcast:4 row_mask:0xf bank_mask:0xf// 000000004040: 0B0908FA FF01541A
	v_mul_f32_dpp v133, v26, v133 row_newbcast:5 row_mask:0xf bank_mask:0xf// 000000004048: 0B0B0AFA FF01551A
	v_mul_f32_dpp v134, v26, v134 row_newbcast:6 row_mask:0xf bank_mask:0xf// 000000004050: 0B0D0CFA FF01561A
	v_mul_f32_dpp v135, v26, v135 row_newbcast:7 row_mask:0xf bank_mask:0xf// 000000004058: 0B0F0EFA FF01571A
	v_cvt_f32_i32_e32 v136, v136                               // 000000004060: 7F100B88
	v_cvt_f32_i32_e32 v137, v137                               // 000000004064: 7F120B89
	v_cvt_f32_i32_e32 v138, v138                               // 000000004068: 7F140B8A
	v_cvt_f32_i32_e32 v139, v139                               // 00000000406C: 7F160B8B
	v_mul_f32_dpp v136, v26, v136 row_newbcast:4 row_mask:0xf bank_mask:0xf// 000000004070: 0B1110FA FF01541A
	v_mul_f32_dpp v137, v26, v137 row_newbcast:5 row_mask:0xf bank_mask:0xf// 000000004078: 0B1312FA FF01551A
	v_mul_f32_dpp v138, v26, v138 row_newbcast:6 row_mask:0xf bank_mask:0xf// 000000004080: 0B1514FA FF01561A
	v_mul_f32_dpp v139, v26, v139 row_newbcast:7 row_mask:0xf bank_mask:0xf// 000000004088: 0B1716FA FF01571A
	v_mov_b32_e32 v4, v33                                      // 000000004090: 7E080321
	v_mov_b32_e32 v5, v4                                       // 000000004094: 7E0A0304
	v_pk_mul_f32 v[60:61], v[4:5], v[60:61]                    // 000000004098: D3B1403C 18027904
	v_pk_mul_f32 v[100:101], v[4:5], v[100:101]                // 0000000040A0: D3B14064 1802C904
	v_pk_mul_f32 v[62:63], v[4:5], v[62:63]                    // 0000000040A8: D3B1403E 18027D04
	v_pk_mul_f32 v[102:103], v[4:5], v[102:103]                // 0000000040B0: D3B14066 1802CD04
	v_pk_mul_f32 v[80:81], v[4:5], v[80:81]                    // 0000000040B8: D3B14050 1802A104
	v_pk_mul_f32 v[120:121], v[4:5], v[120:121]                // 0000000040C0: D3B14078 1802F104
	v_pk_mul_f32 v[82:83], v[4:5], v[82:83]                    // 0000000040C8: D3B14052 1802A504
	v_pk_mul_f32 v[122:123], v[4:5], v[122:123]                // 0000000040D0: D3B1407A 1802F504
	v_mov_b32_e32 v4, v34                                      // 0000000040D8: 7E080322
	v_mov_b32_e32 v5, v4                                       // 0000000040DC: 7E0A0304
	v_pk_mul_f32 v[64:65], v[4:5], v[64:65]                    // 0000000040E0: D3B14040 18028104
	v_pk_mul_f32 v[104:105], v[4:5], v[104:105]                // 0000000040E8: D3B14068 1802D104
	v_pk_mul_f32 v[66:67], v[4:5], v[66:67]                    // 0000000040F0: D3B14042 18028504
	v_pk_mul_f32 v[106:107], v[4:5], v[106:107]                // 0000000040F8: D3B1406A 1802D504
	v_pk_mul_f32 v[84:85], v[4:5], v[84:85]                    // 000000004100: D3B14054 1802A904
	v_pk_mul_f32 v[124:125], v[4:5], v[124:125]                // 000000004108: D3B1407C 1802F904
	v_pk_mul_f32 v[86:87], v[4:5], v[86:87]                    // 000000004110: D3B14056 1802AD04
	v_pk_mul_f32 v[126:127], v[4:5], v[126:127]                // 000000004118: D3B1407E 1802FD04
	v_mov_b32_e32 v4, v35                                      // 000000004120: 7E080323
	v_mov_b32_e32 v5, v4                                       // 000000004124: 7E0A0304
	v_pk_mul_f32 v[68:69], v[4:5], v[68:69]                    // 000000004128: D3B14044 18028904
	v_pk_mul_f32 v[108:109], v[4:5], v[108:109]                // 000000004130: D3B1406C 1802D904
	v_pk_mul_f32 v[70:71], v[4:5], v[70:71]                    // 000000004138: D3B14046 18028D04
	v_pk_mul_f32 v[110:111], v[4:5], v[110:111]                // 000000004140: D3B1406E 1802DD04
	v_pk_mul_f32 v[88:89], v[4:5], v[88:89]                    // 000000004148: D3B14058 1802B104
	v_pk_mul_f32 v[128:129], v[4:5], v[128:129]                // 000000004150: D3B14080 18030104
	v_pk_mul_f32 v[90:91], v[4:5], v[90:91]                    // 000000004158: D3B1405A 1802B504
	v_pk_mul_f32 v[130:131], v[4:5], v[130:131]                // 000000004160: D3B14082 18030504
	v_mov_b32_e32 v4, v36                                      // 000000004168: 7E080324
	v_mov_b32_e32 v5, v4                                       // 00000000416C: 7E0A0304
	v_pk_mul_f32 v[72:73], v[4:5], v[72:73]                    // 000000004170: D3B14048 18029104
	v_pk_mul_f32 v[112:113], v[4:5], v[112:113]                // 000000004178: D3B14070 1802E104
	v_pk_mul_f32 v[74:75], v[4:5], v[74:75]                    // 000000004180: D3B1404A 18029504
	v_pk_mul_f32 v[114:115], v[4:5], v[114:115]                // 000000004188: D3B14072 1802E504
	v_pk_mul_f32 v[92:93], v[4:5], v[92:93]                    // 000000004190: D3B1405C 1802B904
	v_pk_mul_f32 v[132:133], v[4:5], v[132:133]                // 000000004198: D3B14084 18030904
	v_pk_mul_f32 v[94:95], v[4:5], v[94:95]                    // 0000000041A0: D3B1405E 1802BD04
	v_pk_mul_f32 v[134:135], v[4:5], v[134:135]                // 0000000041A8: D3B14086 18030D04
	v_mov_b32_e32 v4, v37                                      // 0000000041B0: 7E080325
	v_mov_b32_e32 v5, v4                                       // 0000000041B4: 7E0A0304
	v_pk_mul_f32 v[76:77], v[4:5], v[76:77]                    // 0000000041B8: D3B1404C 18029904
	v_pk_mul_f32 v[116:117], v[4:5], v[116:117]                // 0000000041C0: D3B14074 1802E904
	v_pk_mul_f32 v[78:79], v[4:5], v[78:79]                    // 0000000041C8: D3B1404E 18029D04
	v_pk_mul_f32 v[118:119], v[4:5], v[118:119]                // 0000000041D0: D3B14076 1802ED04
	v_pk_mul_f32 v[96:97], v[4:5], v[96:97]                    // 0000000041D8: D3B14060 1802C104
	v_pk_mul_f32 v[136:137], v[4:5], v[136:137]                // 0000000041E0: D3B14088 18031104
	v_pk_mul_f32 v[98:99], v[4:5], v[98:99]                    // 0000000041E8: D3B14062 1802C504
	v_pk_mul_f32 v[138:139], v[4:5], v[138:139]                // 0000000041F0: D3B1408A 18031504
	s_cmp_eq_u32 s88, 0                                        // 0000000041F8: BF068058
	s_cbranch_scc0 label_0BE9                                  // 0000000041FC: BF8405E9
	s_cmp_eq_u32 s89, 0                                        // 000000004200: BF068059
	s_cbranch_scc1 label_0797                                  // 000000004204: BF850195
	v_mov_b32_e32 v8, v1                                       // 000000004208: 7E100301
	v_mov_b32_e32 v9, v1                                       // 00000000420C: 7E120301
	s_mov_b32 s60, s6                                          // 000000004210: BEBC0006
	s_mov_b32 s61, s6                                          // 000000004214: BEBD0006
	v_pk_mul_f32 v[4:5], v[60:61], v[60:61]                    // 000000004218: D3B14004 1802793C
	v_pk_mul_f32 v[6:7], v[62:63], v[62:63]                    // 000000004220: D3B14006 18027D3E
	v_pk_fma_f32 v[4:5], v[4:5], s[78:79], v[8:9]              // 000000004228: D3B04004 1C209D04
	v_pk_fma_f32 v[6:7], v[6:7], s[78:79], v[8:9]              // 000000004230: D3B04006 1C209D06
	v_pk_mul_f32 v[4:5], v[4:5], v[60:61]                      // 000000004238: D3B14004 18027904
	v_pk_mul_f32 v[6:7], v[6:7], v[62:63]                      // 000000004240: D3B14006 18027D06
	v_pk_mul_f32 v[4:5], v[4:5], s[60:61]                      // 000000004248: D3B14004 18007904
	v_pk_mul_f32 v[6:7], v[6:7], s[60:61]                      // 000000004250: D3B14006 18007906
	v_exp_f32_e32 v4, v4                                       // 000000004258: 7E084104
	v_exp_f32_e32 v5, v5                                       // 00000000425C: 7E0A4105
	v_exp_f32_e32 v6, v6                                       // 000000004260: 7E0C4106
	v_exp_f32_e32 v7, v7                                       // 000000004264: 7E0E4107
	v_add_f32_e64 v4, v4, 1.0                                  // 000000004268: D1010004 0001E504
	v_add_f32_e64 v5, v5, 1.0                                  // 000000004270: D1010005 0001E505
	v_add_f32_e64 v6, v6, 1.0                                  // 000000004278: D1010006 0001E506
	v_add_f32_e64 v7, v7, 1.0                                  // 000000004280: D1010007 0001E507
	v_rcp_f32_e32 v4, v4                                       // 000000004288: 7E084504
	v_rcp_f32_e32 v5, v5                                       // 00000000428C: 7E0A4505
	v_rcp_f32_e32 v6, v6                                       // 000000004290: 7E0C4506
	v_rcp_f32_e32 v7, v7                                       // 000000004294: 7E0E4507
	v_mul_f32_e32 v60, v60, v4                                 // 000000004298: 0A78093C
	v_mul_f32_e32 v61, v61, v5                                 // 00000000429C: 0A7A0B3D
	v_mul_f32_e32 v62, v62, v6                                 // 0000000042A0: 0A7C0D3E
	v_mul_f32_e32 v63, v63, v7                                 // 0000000042A4: 0A7E0F3F
	v_mul_f32_e32 v60, v60, v100                               // 0000000042A8: 0A78C93C
	v_mul_f32_e32 v61, v61, v101                               // 0000000042AC: 0A7ACB3D
	v_mul_f32_e32 v62, v62, v102                               // 0000000042B0: 0A7CCD3E
	v_mul_f32_e32 v63, v63, v103                               // 0000000042B4: 0A7ECF3F
	v_pk_mul_f32 v[4:5], v[64:65], v[64:65]                    // 0000000042B8: D3B14004 18028140
	v_pk_mul_f32 v[6:7], v[66:67], v[66:67]                    // 0000000042C0: D3B14006 18028542
	v_pk_fma_f32 v[4:5], v[4:5], s[78:79], v[8:9]              // 0000000042C8: D3B04004 1C209D04
	v_pk_fma_f32 v[6:7], v[6:7], s[78:79], v[8:9]              // 0000000042D0: D3B04006 1C209D06
	v_pk_mul_f32 v[4:5], v[4:5], v[64:65]                      // 0000000042D8: D3B14004 18028104
	v_pk_mul_f32 v[6:7], v[6:7], v[66:67]                      // 0000000042E0: D3B14006 18028506
	v_pk_mul_f32 v[4:5], v[4:5], s[60:61]                      // 0000000042E8: D3B14004 18007904
	v_pk_mul_f32 v[6:7], v[6:7], s[60:61]                      // 0000000042F0: D3B14006 18007906
	v_exp_f32_e32 v4, v4                                       // 0000000042F8: 7E084104
	v_exp_f32_e32 v5, v5                                       // 0000000042FC: 7E0A4105
	v_exp_f32_e32 v6, v6                                       // 000000004300: 7E0C4106
	v_exp_f32_e32 v7, v7                                       // 000000004304: 7E0E4107
	v_add_f32_e64 v4, v4, 1.0                                  // 000000004308: D1010004 0001E504
	v_add_f32_e64 v5, v5, 1.0                                  // 000000004310: D1010005 0001E505
	v_add_f32_e64 v6, v6, 1.0                                  // 000000004318: D1010006 0001E506
	v_add_f32_e64 v7, v7, 1.0                                  // 000000004320: D1010007 0001E507
	v_rcp_f32_e32 v4, v4                                       // 000000004328: 7E084504
	v_rcp_f32_e32 v5, v5                                       // 00000000432C: 7E0A4505
	v_rcp_f32_e32 v6, v6                                       // 000000004330: 7E0C4506
	v_rcp_f32_e32 v7, v7                                       // 000000004334: 7E0E4507
	v_mul_f32_e32 v64, v64, v4                                 // 000000004338: 0A800940
	v_mul_f32_e32 v65, v65, v5                                 // 00000000433C: 0A820B41
	v_mul_f32_e32 v66, v66, v6                                 // 000000004340: 0A840D42
	v_mul_f32_e32 v67, v67, v7                                 // 000000004344: 0A860F43
	v_mul_f32_e32 v64, v64, v104                               // 000000004348: 0A80D140
	v_mul_f32_e32 v65, v65, v105                               // 00000000434C: 0A82D341
	v_mul_f32_e32 v66, v66, v106                               // 000000004350: 0A84D542
	v_mul_f32_e32 v67, v67, v107                               // 000000004354: 0A86D743
	v_pk_mul_f32 v[4:5], v[68:69], v[68:69]                    // 000000004358: D3B14004 18028944
	v_pk_mul_f32 v[6:7], v[70:71], v[70:71]                    // 000000004360: D3B14006 18028D46
	v_pk_fma_f32 v[4:5], v[4:5], s[78:79], v[8:9]              // 000000004368: D3B04004 1C209D04
	v_pk_fma_f32 v[6:7], v[6:7], s[78:79], v[8:9]              // 000000004370: D3B04006 1C209D06
	v_pk_mul_f32 v[4:5], v[4:5], v[68:69]                      // 000000004378: D3B14004 18028904
	v_pk_mul_f32 v[6:7], v[6:7], v[70:71]                      // 000000004380: D3B14006 18028D06
	v_pk_mul_f32 v[4:5], v[4:5], s[60:61]                      // 000000004388: D3B14004 18007904
	v_pk_mul_f32 v[6:7], v[6:7], s[60:61]                      // 000000004390: D3B14006 18007906
	v_exp_f32_e32 v4, v4                                       // 000000004398: 7E084104
	v_exp_f32_e32 v5, v5                                       // 00000000439C: 7E0A4105
	v_exp_f32_e32 v6, v6                                       // 0000000043A0: 7E0C4106
	v_exp_f32_e32 v7, v7                                       // 0000000043A4: 7E0E4107
	v_add_f32_e64 v4, v4, 1.0                                  // 0000000043A8: D1010004 0001E504
	v_add_f32_e64 v5, v5, 1.0                                  // 0000000043B0: D1010005 0001E505
	v_add_f32_e64 v6, v6, 1.0                                  // 0000000043B8: D1010006 0001E506
	v_add_f32_e64 v7, v7, 1.0                                  // 0000000043C0: D1010007 0001E507
	v_rcp_f32_e32 v4, v4                                       // 0000000043C8: 7E084504
	v_rcp_f32_e32 v5, v5                                       // 0000000043CC: 7E0A4505
	v_rcp_f32_e32 v6, v6                                       // 0000000043D0: 7E0C4506
	v_rcp_f32_e32 v7, v7                                       // 0000000043D4: 7E0E4507
	v_mul_f32_e32 v68, v68, v4                                 // 0000000043D8: 0A880944
	v_mul_f32_e32 v69, v69, v5                                 // 0000000043DC: 0A8A0B45
	v_mul_f32_e32 v70, v70, v6                                 // 0000000043E0: 0A8C0D46
	v_mul_f32_e32 v71, v71, v7                                 // 0000000043E4: 0A8E0F47
	v_mul_f32_e32 v68, v68, v108                               // 0000000043E8: 0A88D944
	v_mul_f32_e32 v69, v69, v109                               // 0000000043EC: 0A8ADB45
	v_mul_f32_e32 v70, v70, v110                               // 0000000043F0: 0A8CDD46
	v_mul_f32_e32 v71, v71, v111                               // 0000000043F4: 0A8EDF47
	v_pk_mul_f32 v[4:5], v[72:73], v[72:73]                    // 0000000043F8: D3B14004 18029148
	v_pk_mul_f32 v[6:7], v[74:75], v[74:75]                    // 000000004400: D3B14006 1802954A
	v_pk_fma_f32 v[4:5], v[4:5], s[78:79], v[8:9]              // 000000004408: D3B04004 1C209D04
	v_pk_fma_f32 v[6:7], v[6:7], s[78:79], v[8:9]              // 000000004410: D3B04006 1C209D06
	v_pk_mul_f32 v[4:5], v[4:5], v[72:73]                      // 000000004418: D3B14004 18029104
	v_pk_mul_f32 v[6:7], v[6:7], v[74:75]                      // 000000004420: D3B14006 18029506
	v_pk_mul_f32 v[4:5], v[4:5], s[60:61]                      // 000000004428: D3B14004 18007904
	v_pk_mul_f32 v[6:7], v[6:7], s[60:61]                      // 000000004430: D3B14006 18007906
	v_exp_f32_e32 v4, v4                                       // 000000004438: 7E084104
	v_exp_f32_e32 v5, v5                                       // 00000000443C: 7E0A4105
	v_exp_f32_e32 v6, v6                                       // 000000004440: 7E0C4106
	v_exp_f32_e32 v7, v7                                       // 000000004444: 7E0E4107
	v_add_f32_e64 v4, v4, 1.0                                  // 000000004448: D1010004 0001E504
	v_add_f32_e64 v5, v5, 1.0                                  // 000000004450: D1010005 0001E505
	v_add_f32_e64 v6, v6, 1.0                                  // 000000004458: D1010006 0001E506
	v_add_f32_e64 v7, v7, 1.0                                  // 000000004460: D1010007 0001E507
	v_rcp_f32_e32 v4, v4                                       // 000000004468: 7E084504
	v_rcp_f32_e32 v5, v5                                       // 00000000446C: 7E0A4505
	v_rcp_f32_e32 v6, v6                                       // 000000004470: 7E0C4506
	v_rcp_f32_e32 v7, v7                                       // 000000004474: 7E0E4507
	v_mul_f32_e32 v72, v72, v4                                 // 000000004478: 0A900948
	v_mul_f32_e32 v73, v73, v5                                 // 00000000447C: 0A920B49
	v_mul_f32_e32 v74, v74, v6                                 // 000000004480: 0A940D4A
	v_mul_f32_e32 v75, v75, v7                                 // 000000004484: 0A960F4B
	v_mul_f32_e32 v72, v72, v112                               // 000000004488: 0A90E148
	v_mul_f32_e32 v73, v73, v113                               // 00000000448C: 0A92E349
	v_mul_f32_e32 v74, v74, v114                               // 000000004490: 0A94E54A
	v_mul_f32_e32 v75, v75, v115                               // 000000004494: 0A96E74B
	v_pk_mul_f32 v[4:5], v[76:77], v[76:77]                    // 000000004498: D3B14004 1802994C
	v_pk_mul_f32 v[6:7], v[78:79], v[78:79]                    // 0000000044A0: D3B14006 18029D4E
	v_pk_fma_f32 v[4:5], v[4:5], s[78:79], v[8:9]              // 0000000044A8: D3B04004 1C209D04
	v_pk_fma_f32 v[6:7], v[6:7], s[78:79], v[8:9]              // 0000000044B0: D3B04006 1C209D06
	v_pk_mul_f32 v[4:5], v[4:5], v[76:77]                      // 0000000044B8: D3B14004 18029904
	v_pk_mul_f32 v[6:7], v[6:7], v[78:79]                      // 0000000044C0: D3B14006 18029D06
	v_pk_mul_f32 v[4:5], v[4:5], s[60:61]                      // 0000000044C8: D3B14004 18007904
	v_pk_mul_f32 v[6:7], v[6:7], s[60:61]                      // 0000000044D0: D3B14006 18007906
	v_exp_f32_e32 v4, v4                                       // 0000000044D8: 7E084104
	v_exp_f32_e32 v5, v5                                       // 0000000044DC: 7E0A4105
	v_exp_f32_e32 v6, v6                                       // 0000000044E0: 7E0C4106
	v_exp_f32_e32 v7, v7                                       // 0000000044E4: 7E0E4107
	v_add_f32_e64 v4, v4, 1.0                                  // 0000000044E8: D1010004 0001E504
	v_add_f32_e64 v5, v5, 1.0                                  // 0000000044F0: D1010005 0001E505
	v_add_f32_e64 v6, v6, 1.0                                  // 0000000044F8: D1010006 0001E506
	v_add_f32_e64 v7, v7, 1.0                                  // 000000004500: D1010007 0001E507
	v_rcp_f32_e32 v4, v4                                       // 000000004508: 7E084504
	v_rcp_f32_e32 v5, v5                                       // 00000000450C: 7E0A4505
	v_rcp_f32_e32 v6, v6                                       // 000000004510: 7E0C4506
	v_rcp_f32_e32 v7, v7                                       // 000000004514: 7E0E4507
	v_mul_f32_e32 v76, v76, v4                                 // 000000004518: 0A98094C
	v_mul_f32_e32 v77, v77, v5                                 // 00000000451C: 0A9A0B4D
	v_mul_f32_e32 v78, v78, v6                                 // 000000004520: 0A9C0D4E
	v_mul_f32_e32 v79, v79, v7                                 // 000000004524: 0A9E0F4F
	v_mul_f32_e32 v76, v76, v116                               // 000000004528: 0A98E94C
	v_mul_f32_e32 v77, v77, v117                               // 00000000452C: 0A9AEB4D
	v_mul_f32_e32 v78, v78, v118                               // 000000004530: 0A9CED4E
	v_mul_f32_e32 v79, v79, v119                               // 000000004534: 0A9EEF4F
	v_pk_mul_f32 v[4:5], v[80:81], v[80:81]                    // 000000004538: D3B14004 1802A150
	v_pk_mul_f32 v[6:7], v[82:83], v[82:83]                    // 000000004540: D3B14006 1802A552
	v_pk_fma_f32 v[4:5], v[4:5], s[78:79], v[8:9]              // 000000004548: D3B04004 1C209D04
	v_pk_fma_f32 v[6:7], v[6:7], s[78:79], v[8:9]              // 000000004550: D3B04006 1C209D06
	v_pk_mul_f32 v[4:5], v[4:5], v[80:81]                      // 000000004558: D3B14004 1802A104
	v_pk_mul_f32 v[6:7], v[6:7], v[82:83]                      // 000000004560: D3B14006 1802A506
	v_pk_mul_f32 v[4:5], v[4:5], s[60:61]                      // 000000004568: D3B14004 18007904
	v_pk_mul_f32 v[6:7], v[6:7], s[60:61]                      // 000000004570: D3B14006 18007906
	v_exp_f32_e32 v4, v4                                       // 000000004578: 7E084104
	v_exp_f32_e32 v5, v5                                       // 00000000457C: 7E0A4105
	v_exp_f32_e32 v6, v6                                       // 000000004580: 7E0C4106
	v_exp_f32_e32 v7, v7                                       // 000000004584: 7E0E4107
	v_add_f32_e64 v4, v4, 1.0                                  // 000000004588: D1010004 0001E504
	v_add_f32_e64 v5, v5, 1.0                                  // 000000004590: D1010005 0001E505
	v_add_f32_e64 v6, v6, 1.0                                  // 000000004598: D1010006 0001E506
	v_add_f32_e64 v7, v7, 1.0                                  // 0000000045A0: D1010007 0001E507
	v_rcp_f32_e32 v4, v4                                       // 0000000045A8: 7E084504
	v_rcp_f32_e32 v5, v5                                       // 0000000045AC: 7E0A4505
	v_rcp_f32_e32 v6, v6                                       // 0000000045B0: 7E0C4506
	v_rcp_f32_e32 v7, v7                                       // 0000000045B4: 7E0E4507
	v_mul_f32_e32 v80, v80, v4                                 // 0000000045B8: 0AA00950
	v_mul_f32_e32 v81, v81, v5                                 // 0000000045BC: 0AA20B51
	v_mul_f32_e32 v82, v82, v6                                 // 0000000045C0: 0AA40D52
	v_mul_f32_e32 v83, v83, v7                                 // 0000000045C4: 0AA60F53
	v_mul_f32_e32 v80, v80, v120                               // 0000000045C8: 0AA0F150
	v_mul_f32_e32 v81, v81, v121                               // 0000000045CC: 0AA2F351
	v_mul_f32_e32 v82, v82, v122                               // 0000000045D0: 0AA4F552
	v_mul_f32_e32 v83, v83, v123                               // 0000000045D4: 0AA6F753
	v_pk_mul_f32 v[4:5], v[84:85], v[84:85]                    // 0000000045D8: D3B14004 1802A954
	v_pk_mul_f32 v[6:7], v[86:87], v[86:87]                    // 0000000045E0: D3B14006 1802AD56
	v_pk_fma_f32 v[4:5], v[4:5], s[78:79], v[8:9]              // 0000000045E8: D3B04004 1C209D04
	v_pk_fma_f32 v[6:7], v[6:7], s[78:79], v[8:9]              // 0000000045F0: D3B04006 1C209D06
	v_pk_mul_f32 v[4:5], v[4:5], v[84:85]                      // 0000000045F8: D3B14004 1802A904
	v_pk_mul_f32 v[6:7], v[6:7], v[86:87]                      // 000000004600: D3B14006 1802AD06
	v_pk_mul_f32 v[4:5], v[4:5], s[60:61]                      // 000000004608: D3B14004 18007904
	v_pk_mul_f32 v[6:7], v[6:7], s[60:61]                      // 000000004610: D3B14006 18007906
	v_exp_f32_e32 v4, v4                                       // 000000004618: 7E084104
	v_exp_f32_e32 v5, v5                                       // 00000000461C: 7E0A4105
	v_exp_f32_e32 v6, v6                                       // 000000004620: 7E0C4106
	v_exp_f32_e32 v7, v7                                       // 000000004624: 7E0E4107
	v_add_f32_e64 v4, v4, 1.0                                  // 000000004628: D1010004 0001E504
	v_add_f32_e64 v5, v5, 1.0                                  // 000000004630: D1010005 0001E505
	v_add_f32_e64 v6, v6, 1.0                                  // 000000004638: D1010006 0001E506
	v_add_f32_e64 v7, v7, 1.0                                  // 000000004640: D1010007 0001E507
	v_rcp_f32_e32 v4, v4                                       // 000000004648: 7E084504
	v_rcp_f32_e32 v5, v5                                       // 00000000464C: 7E0A4505
	v_rcp_f32_e32 v6, v6                                       // 000000004650: 7E0C4506
	v_rcp_f32_e32 v7, v7                                       // 000000004654: 7E0E4507
	v_mul_f32_e32 v84, v84, v4                                 // 000000004658: 0AA80954
	v_mul_f32_e32 v85, v85, v5                                 // 00000000465C: 0AAA0B55
	v_mul_f32_e32 v86, v86, v6                                 // 000000004660: 0AAC0D56
	v_mul_f32_e32 v87, v87, v7                                 // 000000004664: 0AAE0F57
	v_mul_f32_e32 v84, v84, v124                               // 000000004668: 0AA8F954
	v_mul_f32_e32 v85, v85, v125                               // 00000000466C: 0AAAFB55
	v_mul_f32_e32 v86, v86, v126                               // 000000004670: 0AACFD56
	v_mul_f32_e32 v87, v87, v127                               // 000000004674: 0AAEFF57
	v_pk_mul_f32 v[4:5], v[88:89], v[88:89]                    // 000000004678: D3B14004 1802B158
	v_pk_mul_f32 v[6:7], v[90:91], v[90:91]                    // 000000004680: D3B14006 1802B55A
	v_pk_fma_f32 v[4:5], v[4:5], s[78:79], v[8:9]              // 000000004688: D3B04004 1C209D04
	v_pk_fma_f32 v[6:7], v[6:7], s[78:79], v[8:9]              // 000000004690: D3B04006 1C209D06
	v_pk_mul_f32 v[4:5], v[4:5], v[88:89]                      // 000000004698: D3B14004 1802B104
	v_pk_mul_f32 v[6:7], v[6:7], v[90:91]                      // 0000000046A0: D3B14006 1802B506
	v_pk_mul_f32 v[4:5], v[4:5], s[60:61]                      // 0000000046A8: D3B14004 18007904
	v_pk_mul_f32 v[6:7], v[6:7], s[60:61]                      // 0000000046B0: D3B14006 18007906
	v_exp_f32_e32 v4, v4                                       // 0000000046B8: 7E084104
	v_exp_f32_e32 v5, v5                                       // 0000000046BC: 7E0A4105
	v_exp_f32_e32 v6, v6                                       // 0000000046C0: 7E0C4106
	v_exp_f32_e32 v7, v7                                       // 0000000046C4: 7E0E4107
	v_add_f32_e64 v4, v4, 1.0                                  // 0000000046C8: D1010004 0001E504
	v_add_f32_e64 v5, v5, 1.0                                  // 0000000046D0: D1010005 0001E505
	v_add_f32_e64 v6, v6, 1.0                                  // 0000000046D8: D1010006 0001E506
	v_add_f32_e64 v7, v7, 1.0                                  // 0000000046E0: D1010007 0001E507
	v_rcp_f32_e32 v4, v4                                       // 0000000046E8: 7E084504
	v_rcp_f32_e32 v5, v5                                       // 0000000046EC: 7E0A4505
	v_rcp_f32_e32 v6, v6                                       // 0000000046F0: 7E0C4506
	v_rcp_f32_e32 v7, v7                                       // 0000000046F4: 7E0E4507
	v_mul_f32_e32 v88, v88, v4                                 // 0000000046F8: 0AB00958
	v_mul_f32_e32 v89, v89, v5                                 // 0000000046FC: 0AB20B59
	v_mul_f32_e32 v90, v90, v6                                 // 000000004700: 0AB40D5A
	v_mul_f32_e32 v91, v91, v7                                 // 000000004704: 0AB60F5B
	v_mul_f32_e32 v88, v88, v128                               // 000000004708: 0AB10158
	v_mul_f32_e32 v89, v89, v129                               // 00000000470C: 0AB30359
	v_mul_f32_e32 v90, v90, v130                               // 000000004710: 0AB5055A
	v_mul_f32_e32 v91, v91, v131                               // 000000004714: 0AB7075B
	v_pk_mul_f32 v[4:5], v[92:93], v[92:93]                    // 000000004718: D3B14004 1802B95C
	v_pk_mul_f32 v[6:7], v[94:95], v[94:95]                    // 000000004720: D3B14006 1802BD5E
	v_pk_fma_f32 v[4:5], v[4:5], s[78:79], v[8:9]              // 000000004728: D3B04004 1C209D04
	v_pk_fma_f32 v[6:7], v[6:7], s[78:79], v[8:9]              // 000000004730: D3B04006 1C209D06
	v_pk_mul_f32 v[4:5], v[4:5], v[92:93]                      // 000000004738: D3B14004 1802B904
	v_pk_mul_f32 v[6:7], v[6:7], v[94:95]                      // 000000004740: D3B14006 1802BD06
	v_pk_mul_f32 v[4:5], v[4:5], s[60:61]                      // 000000004748: D3B14004 18007904
	v_pk_mul_f32 v[6:7], v[6:7], s[60:61]                      // 000000004750: D3B14006 18007906
	v_exp_f32_e32 v4, v4                                       // 000000004758: 7E084104
	v_exp_f32_e32 v5, v5                                       // 00000000475C: 7E0A4105
	v_exp_f32_e32 v6, v6                                       // 000000004760: 7E0C4106
	v_exp_f32_e32 v7, v7                                       // 000000004764: 7E0E4107
	v_add_f32_e64 v4, v4, 1.0                                  // 000000004768: D1010004 0001E504
	v_add_f32_e64 v5, v5, 1.0                                  // 000000004770: D1010005 0001E505
	v_add_f32_e64 v6, v6, 1.0                                  // 000000004778: D1010006 0001E506
	v_add_f32_e64 v7, v7, 1.0                                  // 000000004780: D1010007 0001E507
	v_rcp_f32_e32 v4, v4                                       // 000000004788: 7E084504
	v_rcp_f32_e32 v5, v5                                       // 00000000478C: 7E0A4505
	v_rcp_f32_e32 v6, v6                                       // 000000004790: 7E0C4506
	v_rcp_f32_e32 v7, v7                                       // 000000004794: 7E0E4507
	v_mul_f32_e32 v92, v92, v4                                 // 000000004798: 0AB8095C
	v_mul_f32_e32 v93, v93, v5                                 // 00000000479C: 0ABA0B5D
	v_mul_f32_e32 v94, v94, v6                                 // 0000000047A0: 0ABC0D5E
	v_mul_f32_e32 v95, v95, v7                                 // 0000000047A4: 0ABE0F5F
	v_mul_f32_e32 v92, v92, v132                               // 0000000047A8: 0AB9095C
	v_mul_f32_e32 v93, v93, v133                               // 0000000047AC: 0ABB0B5D
	v_mul_f32_e32 v94, v94, v134                               // 0000000047B0: 0ABD0D5E
	v_mul_f32_e32 v95, v95, v135                               // 0000000047B4: 0ABF0F5F
	v_pk_mul_f32 v[4:5], v[96:97], v[96:97]                    // 0000000047B8: D3B14004 1802C160
	v_pk_mul_f32 v[6:7], v[98:99], v[98:99]                    // 0000000047C0: D3B14006 1802C562
	v_pk_fma_f32 v[4:5], v[4:5], s[78:79], v[8:9]              // 0000000047C8: D3B04004 1C209D04
	v_pk_fma_f32 v[6:7], v[6:7], s[78:79], v[8:9]              // 0000000047D0: D3B04006 1C209D06
	v_pk_mul_f32 v[4:5], v[4:5], v[96:97]                      // 0000000047D8: D3B14004 1802C104
	v_pk_mul_f32 v[6:7], v[6:7], v[98:99]                      // 0000000047E0: D3B14006 1802C506
	v_pk_mul_f32 v[4:5], v[4:5], s[60:61]                      // 0000000047E8: D3B14004 18007904
	v_pk_mul_f32 v[6:7], v[6:7], s[60:61]                      // 0000000047F0: D3B14006 18007906
	v_exp_f32_e32 v4, v4                                       // 0000000047F8: 7E084104
	v_exp_f32_e32 v5, v5                                       // 0000000047FC: 7E0A4105
	v_exp_f32_e32 v6, v6                                       // 000000004800: 7E0C4106
	v_exp_f32_e32 v7, v7                                       // 000000004804: 7E0E4107
	v_add_f32_e64 v4, v4, 1.0                                  // 000000004808: D1010004 0001E504
	v_add_f32_e64 v5, v5, 1.0                                  // 000000004810: D1010005 0001E505
	v_add_f32_e64 v6, v6, 1.0                                  // 000000004818: D1010006 0001E506
	v_add_f32_e64 v7, v7, 1.0                                  // 000000004820: D1010007 0001E507
	v_rcp_f32_e32 v4, v4                                       // 000000004828: 7E084504
	v_rcp_f32_e32 v5, v5                                       // 00000000482C: 7E0A4505
	v_rcp_f32_e32 v6, v6                                       // 000000004830: 7E0C4506
	v_rcp_f32_e32 v7, v7                                       // 000000004834: 7E0E4507
	v_mul_f32_e32 v96, v96, v4                                 // 000000004838: 0AC00960
	v_mul_f32_e32 v97, v97, v5                                 // 00000000483C: 0AC20B61
	v_mul_f32_e32 v98, v98, v6                                 // 000000004840: 0AC40D62
	v_mul_f32_e32 v99, v99, v7                                 // 000000004844: 0AC60F63
	v_mul_f32_e32 v96, v96, v136                               // 000000004848: 0AC11160
	v_mul_f32_e32 v97, v97, v137                               // 00000000484C: 0AC31361
	v_mul_f32_e32 v98, v98, v138                               // 000000004850: 0AC51562
	v_mul_f32_e32 v99, v99, v139                               // 000000004854: 0AC71763
	s_branch label_08D7                                        // 000000004858: BF820140

000000000000485c <label_0797>:
	v_mul_f32_e64 v4, -v60, s6                                 // 00000000485C: D1050004 20000D3C
	v_mul_f32_e64 v5, -v61, s6                                 // 000000004864: D1050005 20000D3D
	v_mul_f32_e64 v6, -v62, s6                                 // 00000000486C: D1050006 20000D3E
	v_mul_f32_e64 v7, -v63, s6                                 // 000000004874: D1050007 20000D3F
	v_exp_f32_e32 v4, v4                                       // 00000000487C: 7E084104
	v_exp_f32_e32 v5, v5                                       // 000000004880: 7E0A4105
	v_exp_f32_e32 v6, v6                                       // 000000004884: 7E0C4106
	v_exp_f32_e32 v7, v7                                       // 000000004888: 7E0E4107
	v_add_f32_e64 v4, v4, 1.0                                  // 00000000488C: D1010004 0001E504
	v_add_f32_e64 v5, v5, 1.0                                  // 000000004894: D1010005 0001E505
	v_add_f32_e64 v6, v6, 1.0                                  // 00000000489C: D1010006 0001E506
	v_add_f32_e64 v7, v7, 1.0                                  // 0000000048A4: D1010007 0001E507
	v_rcp_f32_e32 v4, v4                                       // 0000000048AC: 7E084504
	v_rcp_f32_e32 v5, v5                                       // 0000000048B0: 7E0A4505
	v_rcp_f32_e32 v6, v6                                       // 0000000048B4: 7E0C4506
	v_rcp_f32_e32 v7, v7                                       // 0000000048B8: 7E0E4507
	v_mul_f32_e32 v60, v60, v4                                 // 0000000048BC: 0A78093C
	v_mul_f32_e32 v61, v61, v5                                 // 0000000048C0: 0A7A0B3D
	v_mul_f32_e32 v62, v62, v6                                 // 0000000048C4: 0A7C0D3E
	v_mul_f32_e32 v63, v63, v7                                 // 0000000048C8: 0A7E0F3F
	v_mul_f32_e32 v60, v60, v100                               // 0000000048CC: 0A78C93C
	v_mul_f32_e32 v61, v61, v101                               // 0000000048D0: 0A7ACB3D
	v_mul_f32_e32 v62, v62, v102                               // 0000000048D4: 0A7CCD3E
	v_mul_f32_e32 v63, v63, v103                               // 0000000048D8: 0A7ECF3F
	v_mul_f32_e64 v4, -v64, s6                                 // 0000000048DC: D1050004 20000D40
	v_mul_f32_e64 v5, -v65, s6                                 // 0000000048E4: D1050005 20000D41
	v_mul_f32_e64 v6, -v66, s6                                 // 0000000048EC: D1050006 20000D42
	v_mul_f32_e64 v7, -v67, s6                                 // 0000000048F4: D1050007 20000D43
	v_exp_f32_e32 v4, v4                                       // 0000000048FC: 7E084104
	v_exp_f32_e32 v5, v5                                       // 000000004900: 7E0A4105
	v_exp_f32_e32 v6, v6                                       // 000000004904: 7E0C4106
	v_exp_f32_e32 v7, v7                                       // 000000004908: 7E0E4107
	v_add_f32_e64 v4, v4, 1.0                                  // 00000000490C: D1010004 0001E504
	v_add_f32_e64 v5, v5, 1.0                                  // 000000004914: D1010005 0001E505
	v_add_f32_e64 v6, v6, 1.0                                  // 00000000491C: D1010006 0001E506
	v_add_f32_e64 v7, v7, 1.0                                  // 000000004924: D1010007 0001E507
	v_rcp_f32_e32 v4, v4                                       // 00000000492C: 7E084504
	v_rcp_f32_e32 v5, v5                                       // 000000004930: 7E0A4505
	v_rcp_f32_e32 v6, v6                                       // 000000004934: 7E0C4506
	v_rcp_f32_e32 v7, v7                                       // 000000004938: 7E0E4507
	v_mul_f32_e32 v64, v64, v4                                 // 00000000493C: 0A800940
	v_mul_f32_e32 v65, v65, v5                                 // 000000004940: 0A820B41
	v_mul_f32_e32 v66, v66, v6                                 // 000000004944: 0A840D42
	v_mul_f32_e32 v67, v67, v7                                 // 000000004948: 0A860F43
	v_mul_f32_e32 v64, v64, v104                               // 00000000494C: 0A80D140
	v_mul_f32_e32 v65, v65, v105                               // 000000004950: 0A82D341
	v_mul_f32_e32 v66, v66, v106                               // 000000004954: 0A84D542
	v_mul_f32_e32 v67, v67, v107                               // 000000004958: 0A86D743
	v_mul_f32_e64 v4, -v68, s6                                 // 00000000495C: D1050004 20000D44
	v_mul_f32_e64 v5, -v69, s6                                 // 000000004964: D1050005 20000D45
	v_mul_f32_e64 v6, -v70, s6                                 // 00000000496C: D1050006 20000D46
	v_mul_f32_e64 v7, -v71, s6                                 // 000000004974: D1050007 20000D47
	v_exp_f32_e32 v4, v4                                       // 00000000497C: 7E084104
	v_exp_f32_e32 v5, v5                                       // 000000004980: 7E0A4105
	v_exp_f32_e32 v6, v6                                       // 000000004984: 7E0C4106
	v_exp_f32_e32 v7, v7                                       // 000000004988: 7E0E4107
	v_add_f32_e64 v4, v4, 1.0                                  // 00000000498C: D1010004 0001E504
	v_add_f32_e64 v5, v5, 1.0                                  // 000000004994: D1010005 0001E505
	v_add_f32_e64 v6, v6, 1.0                                  // 00000000499C: D1010006 0001E506
	v_add_f32_e64 v7, v7, 1.0                                  // 0000000049A4: D1010007 0001E507
	v_rcp_f32_e32 v4, v4                                       // 0000000049AC: 7E084504
	v_rcp_f32_e32 v5, v5                                       // 0000000049B0: 7E0A4505
	v_rcp_f32_e32 v6, v6                                       // 0000000049B4: 7E0C4506
	v_rcp_f32_e32 v7, v7                                       // 0000000049B8: 7E0E4507
	v_mul_f32_e32 v68, v68, v4                                 // 0000000049BC: 0A880944
	v_mul_f32_e32 v69, v69, v5                                 // 0000000049C0: 0A8A0B45
	v_mul_f32_e32 v70, v70, v6                                 // 0000000049C4: 0A8C0D46
	v_mul_f32_e32 v71, v71, v7                                 // 0000000049C8: 0A8E0F47
	v_mul_f32_e32 v68, v68, v108                               // 0000000049CC: 0A88D944
	v_mul_f32_e32 v69, v69, v109                               // 0000000049D0: 0A8ADB45
	v_mul_f32_e32 v70, v70, v110                               // 0000000049D4: 0A8CDD46
	v_mul_f32_e32 v71, v71, v111                               // 0000000049D8: 0A8EDF47
	v_mul_f32_e64 v4, -v72, s6                                 // 0000000049DC: D1050004 20000D48
	v_mul_f32_e64 v5, -v73, s6                                 // 0000000049E4: D1050005 20000D49
	v_mul_f32_e64 v6, -v74, s6                                 // 0000000049EC: D1050006 20000D4A
	v_mul_f32_e64 v7, -v75, s6                                 // 0000000049F4: D1050007 20000D4B
	v_exp_f32_e32 v4, v4                                       // 0000000049FC: 7E084104
	v_exp_f32_e32 v5, v5                                       // 000000004A00: 7E0A4105
	v_exp_f32_e32 v6, v6                                       // 000000004A04: 7E0C4106
	v_exp_f32_e32 v7, v7                                       // 000000004A08: 7E0E4107
	v_add_f32_e64 v4, v4, 1.0                                  // 000000004A0C: D1010004 0001E504
	v_add_f32_e64 v5, v5, 1.0                                  // 000000004A14: D1010005 0001E505
	v_add_f32_e64 v6, v6, 1.0                                  // 000000004A1C: D1010006 0001E506
	v_add_f32_e64 v7, v7, 1.0                                  // 000000004A24: D1010007 0001E507
	v_rcp_f32_e32 v4, v4                                       // 000000004A2C: 7E084504
	v_rcp_f32_e32 v5, v5                                       // 000000004A30: 7E0A4505
	v_rcp_f32_e32 v6, v6                                       // 000000004A34: 7E0C4506
	v_rcp_f32_e32 v7, v7                                       // 000000004A38: 7E0E4507
	v_mul_f32_e32 v72, v72, v4                                 // 000000004A3C: 0A900948
	v_mul_f32_e32 v73, v73, v5                                 // 000000004A40: 0A920B49
	v_mul_f32_e32 v74, v74, v6                                 // 000000004A44: 0A940D4A
	v_mul_f32_e32 v75, v75, v7                                 // 000000004A48: 0A960F4B
	v_mul_f32_e32 v72, v72, v112                               // 000000004A4C: 0A90E148
	v_mul_f32_e32 v73, v73, v113                               // 000000004A50: 0A92E349
	v_mul_f32_e32 v74, v74, v114                               // 000000004A54: 0A94E54A
	v_mul_f32_e32 v75, v75, v115                               // 000000004A58: 0A96E74B
	v_mul_f32_e64 v4, -v76, s6                                 // 000000004A5C: D1050004 20000D4C
	v_mul_f32_e64 v5, -v77, s6                                 // 000000004A64: D1050005 20000D4D
	v_mul_f32_e64 v6, -v78, s6                                 // 000000004A6C: D1050006 20000D4E
	v_mul_f32_e64 v7, -v79, s6                                 // 000000004A74: D1050007 20000D4F
	v_exp_f32_e32 v4, v4                                       // 000000004A7C: 7E084104
	v_exp_f32_e32 v5, v5                                       // 000000004A80: 7E0A4105
	v_exp_f32_e32 v6, v6                                       // 000000004A84: 7E0C4106
	v_exp_f32_e32 v7, v7                                       // 000000004A88: 7E0E4107
	v_add_f32_e64 v4, v4, 1.0                                  // 000000004A8C: D1010004 0001E504
	v_add_f32_e64 v5, v5, 1.0                                  // 000000004A94: D1010005 0001E505
	v_add_f32_e64 v6, v6, 1.0                                  // 000000004A9C: D1010006 0001E506
	v_add_f32_e64 v7, v7, 1.0                                  // 000000004AA4: D1010007 0001E507
	v_rcp_f32_e32 v4, v4                                       // 000000004AAC: 7E084504
	v_rcp_f32_e32 v5, v5                                       // 000000004AB0: 7E0A4505
	v_rcp_f32_e32 v6, v6                                       // 000000004AB4: 7E0C4506
	v_rcp_f32_e32 v7, v7                                       // 000000004AB8: 7E0E4507
	v_mul_f32_e32 v76, v76, v4                                 // 000000004ABC: 0A98094C
	v_mul_f32_e32 v77, v77, v5                                 // 000000004AC0: 0A9A0B4D
	v_mul_f32_e32 v78, v78, v6                                 // 000000004AC4: 0A9C0D4E
	v_mul_f32_e32 v79, v79, v7                                 // 000000004AC8: 0A9E0F4F
	v_mul_f32_e32 v76, v76, v116                               // 000000004ACC: 0A98E94C
	v_mul_f32_e32 v77, v77, v117                               // 000000004AD0: 0A9AEB4D
	v_mul_f32_e32 v78, v78, v118                               // 000000004AD4: 0A9CED4E
	v_mul_f32_e32 v79, v79, v119                               // 000000004AD8: 0A9EEF4F
	v_mul_f32_e64 v4, -v80, s6                                 // 000000004ADC: D1050004 20000D50
	v_mul_f32_e64 v5, -v81, s6                                 // 000000004AE4: D1050005 20000D51
	v_mul_f32_e64 v6, -v82, s6                                 // 000000004AEC: D1050006 20000D52
	v_mul_f32_e64 v7, -v83, s6                                 // 000000004AF4: D1050007 20000D53
	v_exp_f32_e32 v4, v4                                       // 000000004AFC: 7E084104
	v_exp_f32_e32 v5, v5                                       // 000000004B00: 7E0A4105
	v_exp_f32_e32 v6, v6                                       // 000000004B04: 7E0C4106
	v_exp_f32_e32 v7, v7                                       // 000000004B08: 7E0E4107
	v_add_f32_e64 v4, v4, 1.0                                  // 000000004B0C: D1010004 0001E504
	v_add_f32_e64 v5, v5, 1.0                                  // 000000004B14: D1010005 0001E505
	v_add_f32_e64 v6, v6, 1.0                                  // 000000004B1C: D1010006 0001E506
	v_add_f32_e64 v7, v7, 1.0                                  // 000000004B24: D1010007 0001E507
	v_rcp_f32_e32 v4, v4                                       // 000000004B2C: 7E084504
	v_rcp_f32_e32 v5, v5                                       // 000000004B30: 7E0A4505
	v_rcp_f32_e32 v6, v6                                       // 000000004B34: 7E0C4506
	v_rcp_f32_e32 v7, v7                                       // 000000004B38: 7E0E4507
	v_mul_f32_e32 v80, v80, v4                                 // 000000004B3C: 0AA00950
	v_mul_f32_e32 v81, v81, v5                                 // 000000004B40: 0AA20B51
	v_mul_f32_e32 v82, v82, v6                                 // 000000004B44: 0AA40D52
	v_mul_f32_e32 v83, v83, v7                                 // 000000004B48: 0AA60F53
	v_mul_f32_e32 v80, v80, v120                               // 000000004B4C: 0AA0F150
	v_mul_f32_e32 v81, v81, v121                               // 000000004B50: 0AA2F351
	v_mul_f32_e32 v82, v82, v122                               // 000000004B54: 0AA4F552
	v_mul_f32_e32 v83, v83, v123                               // 000000004B58: 0AA6F753
	v_mul_f32_e64 v4, -v84, s6                                 // 000000004B5C: D1050004 20000D54
	v_mul_f32_e64 v5, -v85, s6                                 // 000000004B64: D1050005 20000D55
	v_mul_f32_e64 v6, -v86, s6                                 // 000000004B6C: D1050006 20000D56
	v_mul_f32_e64 v7, -v87, s6                                 // 000000004B74: D1050007 20000D57
	v_exp_f32_e32 v4, v4                                       // 000000004B7C: 7E084104
	v_exp_f32_e32 v5, v5                                       // 000000004B80: 7E0A4105
	v_exp_f32_e32 v6, v6                                       // 000000004B84: 7E0C4106
	v_exp_f32_e32 v7, v7                                       // 000000004B88: 7E0E4107
	v_add_f32_e64 v4, v4, 1.0                                  // 000000004B8C: D1010004 0001E504
	v_add_f32_e64 v5, v5, 1.0                                  // 000000004B94: D1010005 0001E505
	v_add_f32_e64 v6, v6, 1.0                                  // 000000004B9C: D1010006 0001E506
	v_add_f32_e64 v7, v7, 1.0                                  // 000000004BA4: D1010007 0001E507
	v_rcp_f32_e32 v4, v4                                       // 000000004BAC: 7E084504
	v_rcp_f32_e32 v5, v5                                       // 000000004BB0: 7E0A4505
	v_rcp_f32_e32 v6, v6                                       // 000000004BB4: 7E0C4506
	v_rcp_f32_e32 v7, v7                                       // 000000004BB8: 7E0E4507
	v_mul_f32_e32 v84, v84, v4                                 // 000000004BBC: 0AA80954
	v_mul_f32_e32 v85, v85, v5                                 // 000000004BC0: 0AAA0B55
	v_mul_f32_e32 v86, v86, v6                                 // 000000004BC4: 0AAC0D56
	v_mul_f32_e32 v87, v87, v7                                 // 000000004BC8: 0AAE0F57
	v_mul_f32_e32 v84, v84, v124                               // 000000004BCC: 0AA8F954
	v_mul_f32_e32 v85, v85, v125                               // 000000004BD0: 0AAAFB55
	v_mul_f32_e32 v86, v86, v126                               // 000000004BD4: 0AACFD56
	v_mul_f32_e32 v87, v87, v127                               // 000000004BD8: 0AAEFF57
	v_mul_f32_e64 v4, -v88, s6                                 // 000000004BDC: D1050004 20000D58
	v_mul_f32_e64 v5, -v89, s6                                 // 000000004BE4: D1050005 20000D59
	v_mul_f32_e64 v6, -v90, s6                                 // 000000004BEC: D1050006 20000D5A
	v_mul_f32_e64 v7, -v91, s6                                 // 000000004BF4: D1050007 20000D5B
	v_exp_f32_e32 v4, v4                                       // 000000004BFC: 7E084104
	v_exp_f32_e32 v5, v5                                       // 000000004C00: 7E0A4105
	v_exp_f32_e32 v6, v6                                       // 000000004C04: 7E0C4106
	v_exp_f32_e32 v7, v7                                       // 000000004C08: 7E0E4107
	v_add_f32_e64 v4, v4, 1.0                                  // 000000004C0C: D1010004 0001E504
	v_add_f32_e64 v5, v5, 1.0                                  // 000000004C14: D1010005 0001E505
	v_add_f32_e64 v6, v6, 1.0                                  // 000000004C1C: D1010006 0001E506
	v_add_f32_e64 v7, v7, 1.0                                  // 000000004C24: D1010007 0001E507
	v_rcp_f32_e32 v4, v4                                       // 000000004C2C: 7E084504
	v_rcp_f32_e32 v5, v5                                       // 000000004C30: 7E0A4505
	v_rcp_f32_e32 v6, v6                                       // 000000004C34: 7E0C4506
	v_rcp_f32_e32 v7, v7                                       // 000000004C38: 7E0E4507
	v_mul_f32_e32 v88, v88, v4                                 // 000000004C3C: 0AB00958
	v_mul_f32_e32 v89, v89, v5                                 // 000000004C40: 0AB20B59
	v_mul_f32_e32 v90, v90, v6                                 // 000000004C44: 0AB40D5A
	v_mul_f32_e32 v91, v91, v7                                 // 000000004C48: 0AB60F5B
	v_mul_f32_e32 v88, v88, v128                               // 000000004C4C: 0AB10158
	v_mul_f32_e32 v89, v89, v129                               // 000000004C50: 0AB30359
	v_mul_f32_e32 v90, v90, v130                               // 000000004C54: 0AB5055A
	v_mul_f32_e32 v91, v91, v131                               // 000000004C58: 0AB7075B
	v_mul_f32_e64 v4, -v92, s6                                 // 000000004C5C: D1050004 20000D5C
	v_mul_f32_e64 v5, -v93, s6                                 // 000000004C64: D1050005 20000D5D
	v_mul_f32_e64 v6, -v94, s6                                 // 000000004C6C: D1050006 20000D5E
	v_mul_f32_e64 v7, -v95, s6                                 // 000000004C74: D1050007 20000D5F
	v_exp_f32_e32 v4, v4                                       // 000000004C7C: 7E084104
	v_exp_f32_e32 v5, v5                                       // 000000004C80: 7E0A4105
	v_exp_f32_e32 v6, v6                                       // 000000004C84: 7E0C4106
	v_exp_f32_e32 v7, v7                                       // 000000004C88: 7E0E4107
	v_add_f32_e64 v4, v4, 1.0                                  // 000000004C8C: D1010004 0001E504
	v_add_f32_e64 v5, v5, 1.0                                  // 000000004C94: D1010005 0001E505
	v_add_f32_e64 v6, v6, 1.0                                  // 000000004C9C: D1010006 0001E506
	v_add_f32_e64 v7, v7, 1.0                                  // 000000004CA4: D1010007 0001E507
	v_rcp_f32_e32 v4, v4                                       // 000000004CAC: 7E084504
	v_rcp_f32_e32 v5, v5                                       // 000000004CB0: 7E0A4505
	v_rcp_f32_e32 v6, v6                                       // 000000004CB4: 7E0C4506
	v_rcp_f32_e32 v7, v7                                       // 000000004CB8: 7E0E4507
	v_mul_f32_e32 v92, v92, v4                                 // 000000004CBC: 0AB8095C
	v_mul_f32_e32 v93, v93, v5                                 // 000000004CC0: 0ABA0B5D
	v_mul_f32_e32 v94, v94, v6                                 // 000000004CC4: 0ABC0D5E
	v_mul_f32_e32 v95, v95, v7                                 // 000000004CC8: 0ABE0F5F
	v_mul_f32_e32 v92, v92, v132                               // 000000004CCC: 0AB9095C
	v_mul_f32_e32 v93, v93, v133                               // 000000004CD0: 0ABB0B5D
	v_mul_f32_e32 v94, v94, v134                               // 000000004CD4: 0ABD0D5E
	v_mul_f32_e32 v95, v95, v135                               // 000000004CD8: 0ABF0F5F
	v_mul_f32_e64 v4, -v96, s6                                 // 000000004CDC: D1050004 20000D60
	v_mul_f32_e64 v5, -v97, s6                                 // 000000004CE4: D1050005 20000D61
	v_mul_f32_e64 v6, -v98, s6                                 // 000000004CEC: D1050006 20000D62
	v_mul_f32_e64 v7, -v99, s6                                 // 000000004CF4: D1050007 20000D63
	v_exp_f32_e32 v4, v4                                       // 000000004CFC: 7E084104
	v_exp_f32_e32 v5, v5                                       // 000000004D00: 7E0A4105
	v_exp_f32_e32 v6, v6                                       // 000000004D04: 7E0C4106
	v_exp_f32_e32 v7, v7                                       // 000000004D08: 7E0E4107
	v_add_f32_e64 v4, v4, 1.0                                  // 000000004D0C: D1010004 0001E504
	v_add_f32_e64 v5, v5, 1.0                                  // 000000004D14: D1010005 0001E505
	v_add_f32_e64 v6, v6, 1.0                                  // 000000004D1C: D1010006 0001E506
	v_add_f32_e64 v7, v7, 1.0                                  // 000000004D24: D1010007 0001E507
	v_rcp_f32_e32 v4, v4                                       // 000000004D2C: 7E084504
	v_rcp_f32_e32 v5, v5                                       // 000000004D30: 7E0A4505
	v_rcp_f32_e32 v6, v6                                       // 000000004D34: 7E0C4506
	v_rcp_f32_e32 v7, v7                                       // 000000004D38: 7E0E4507
	v_mul_f32_e32 v96, v96, v4                                 // 000000004D3C: 0AC00960
	v_mul_f32_e32 v97, v97, v5                                 // 000000004D40: 0AC20B61
	v_mul_f32_e32 v98, v98, v6                                 // 000000004D44: 0AC40D62
	v_mul_f32_e32 v99, v99, v7                                 // 000000004D48: 0AC60F63
	v_mul_f32_e32 v96, v96, v136                               // 000000004D4C: 0AC11160
	v_mul_f32_e32 v97, v97, v137                               // 000000004D50: 0AC31361
	v_mul_f32_e32 v98, v98, v138                               // 000000004D54: 0AC51562
	v_mul_f32_e32 v99, v99, v139                               // 000000004D58: 0AC71763

0000000000004d5c <label_08D7>:
	v_cmp_u_f32_e64 s[46:47], v60, v60                         // 000000004D5C: D048002E 0002793C
	v_add3_u32 v16, v60, v19, 1                                // 000000004D64: D1FF0010 0206273C
	v_cndmask_b32_e64 v4, v16, v18, s[46:47]                   // 000000004D6C: D1000004 00BA2510
	v_cmp_u_f32_e64 s[46:47], v61, v61                         // 000000004D74: D048002E 00027B3D
	v_add3_u32 v16, v61, v19, 1                                // 000000004D7C: D1FF0010 0206273D
	v_cndmask_b32_e64 v5, v16, v18, s[46:47]                   // 000000004D84: D1000005 00BA2510
	v_perm_b32 v60, v5, v4, s52                                // 000000004D8C: D1ED003C 00D20905
	v_cmp_u_f32_e64 s[46:47], v62, v62                         // 000000004D94: D048002E 00027D3E
	v_add3_u32 v16, v62, v19, 1                                // 000000004D9C: D1FF0010 0206273E
	v_cndmask_b32_e64 v4, v16, v18, s[46:47]                   // 000000004DA4: D1000004 00BA2510
	v_cmp_u_f32_e64 s[46:47], v63, v63                         // 000000004DAC: D048002E 00027F3F
	v_add3_u32 v16, v63, v19, 1                                // 000000004DB4: D1FF0010 0206273F
	v_cndmask_b32_e64 v5, v16, v18, s[46:47]                   // 000000004DBC: D1000005 00BA2510
	v_perm_b32 v61, v5, v4, s52                                // 000000004DC4: D1ED003D 00D20905
	v_cmp_u_f32_e64 s[46:47], v64, v64                         // 000000004DCC: D048002E 00028140
	v_add3_u32 v16, v64, v19, 1                                // 000000004DD4: D1FF0010 02062740
	v_cndmask_b32_e64 v4, v16, v18, s[46:47]                   // 000000004DDC: D1000004 00BA2510
	v_cmp_u_f32_e64 s[46:47], v65, v65                         // 000000004DE4: D048002E 00028341
	v_add3_u32 v16, v65, v19, 1                                // 000000004DEC: D1FF0010 02062741
	v_cndmask_b32_e64 v5, v16, v18, s[46:47]                   // 000000004DF4: D1000005 00BA2510
	v_perm_b32 v62, v5, v4, s52                                // 000000004DFC: D1ED003E 00D20905
	v_cmp_u_f32_e64 s[46:47], v66, v66                         // 000000004E04: D048002E 00028542
	v_add3_u32 v16, v66, v19, 1                                // 000000004E0C: D1FF0010 02062742
	v_cndmask_b32_e64 v4, v16, v18, s[46:47]                   // 000000004E14: D1000004 00BA2510
	v_cmp_u_f32_e64 s[46:47], v67, v67                         // 000000004E1C: D048002E 00028743
	v_add3_u32 v16, v67, v19, 1                                // 000000004E24: D1FF0010 02062743
	v_cndmask_b32_e64 v5, v16, v18, s[46:47]                   // 000000004E2C: D1000005 00BA2510
	v_perm_b32 v63, v5, v4, s52                                // 000000004E34: D1ED003F 00D20905
	v_cmp_u_f32_e64 s[46:47], v68, v68                         // 000000004E3C: D048002E 00028944
	v_add3_u32 v16, v68, v19, 1                                // 000000004E44: D1FF0010 02062744
	v_cndmask_b32_e64 v4, v16, v18, s[46:47]                   // 000000004E4C: D1000004 00BA2510
	v_cmp_u_f32_e64 s[46:47], v69, v69                         // 000000004E54: D048002E 00028B45
	v_add3_u32 v16, v69, v19, 1                                // 000000004E5C: D1FF0010 02062745
	v_cndmask_b32_e64 v5, v16, v18, s[46:47]                   // 000000004E64: D1000005 00BA2510
	v_perm_b32 v64, v5, v4, s52                                // 000000004E6C: D1ED0040 00D20905
	v_cmp_u_f32_e64 s[46:47], v70, v70                         // 000000004E74: D048002E 00028D46
	v_add3_u32 v16, v70, v19, 1                                // 000000004E7C: D1FF0010 02062746
	v_cndmask_b32_e64 v4, v16, v18, s[46:47]                   // 000000004E84: D1000004 00BA2510
	v_cmp_u_f32_e64 s[46:47], v71, v71                         // 000000004E8C: D048002E 00028F47
	v_add3_u32 v16, v71, v19, 1                                // 000000004E94: D1FF0010 02062747
	v_cndmask_b32_e64 v5, v16, v18, s[46:47]                   // 000000004E9C: D1000005 00BA2510
	v_perm_b32 v65, v5, v4, s52                                // 000000004EA4: D1ED0041 00D20905
	v_cmp_u_f32_e64 s[46:47], v72, v72                         // 000000004EAC: D048002E 00029148
	v_add3_u32 v16, v72, v19, 1                                // 000000004EB4: D1FF0010 02062748
	v_cndmask_b32_e64 v4, v16, v18, s[46:47]                   // 000000004EBC: D1000004 00BA2510
	v_cmp_u_f32_e64 s[46:47], v73, v73                         // 000000004EC4: D048002E 00029349
	v_add3_u32 v16, v73, v19, 1                                // 000000004ECC: D1FF0010 02062749
	v_cndmask_b32_e64 v5, v16, v18, s[46:47]                   // 000000004ED4: D1000005 00BA2510
	v_perm_b32 v66, v5, v4, s52                                // 000000004EDC: D1ED0042 00D20905
	v_cmp_u_f32_e64 s[46:47], v74, v74                         // 000000004EE4: D048002E 0002954A
	v_add3_u32 v16, v74, v19, 1                                // 000000004EEC: D1FF0010 0206274A
	v_cndmask_b32_e64 v4, v16, v18, s[46:47]                   // 000000004EF4: D1000004 00BA2510
	v_cmp_u_f32_e64 s[46:47], v75, v75                         // 000000004EFC: D048002E 0002974B
	v_add3_u32 v16, v75, v19, 1                                // 000000004F04: D1FF0010 0206274B
	v_cndmask_b32_e64 v5, v16, v18, s[46:47]                   // 000000004F0C: D1000005 00BA2510
	v_perm_b32 v67, v5, v4, s52                                // 000000004F14: D1ED0043 00D20905
	v_cmp_u_f32_e64 s[46:47], v76, v76                         // 000000004F1C: D048002E 0002994C
	v_add3_u32 v16, v76, v19, 1                                // 000000004F24: D1FF0010 0206274C
	v_cndmask_b32_e64 v4, v16, v18, s[46:47]                   // 000000004F2C: D1000004 00BA2510
	v_cmp_u_f32_e64 s[46:47], v77, v77                         // 000000004F34: D048002E 00029B4D
	v_add3_u32 v16, v77, v19, 1                                // 000000004F3C: D1FF0010 0206274D
	v_cndmask_b32_e64 v5, v16, v18, s[46:47]                   // 000000004F44: D1000005 00BA2510
	v_perm_b32 v68, v5, v4, s52                                // 000000004F4C: D1ED0044 00D20905
	v_cmp_u_f32_e64 s[46:47], v78, v78                         // 000000004F54: D048002E 00029D4E
	v_add3_u32 v16, v78, v19, 1                                // 000000004F5C: D1FF0010 0206274E
	v_cndmask_b32_e64 v4, v16, v18, s[46:47]                   // 000000004F64: D1000004 00BA2510
	v_cmp_u_f32_e64 s[46:47], v79, v79                         // 000000004F6C: D048002E 00029F4F
	v_add3_u32 v16, v79, v19, 1                                // 000000004F74: D1FF0010 0206274F
	v_cndmask_b32_e64 v5, v16, v18, s[46:47]                   // 000000004F7C: D1000005 00BA2510
	v_perm_b32 v69, v5, v4, s52                                // 000000004F84: D1ED0045 00D20905
	v_cmp_u_f32_e64 s[46:47], v80, v80                         // 000000004F8C: D048002E 0002A150
	v_add3_u32 v16, v80, v19, 1                                // 000000004F94: D1FF0010 02062750
	v_cndmask_b32_e64 v4, v16, v18, s[46:47]                   // 000000004F9C: D1000004 00BA2510
	v_cmp_u_f32_e64 s[46:47], v81, v81                         // 000000004FA4: D048002E 0002A351
	v_add3_u32 v16, v81, v19, 1                                // 000000004FAC: D1FF0010 02062751
	v_cndmask_b32_e64 v5, v16, v18, s[46:47]                   // 000000004FB4: D1000005 00BA2510
	v_perm_b32 v70, v5, v4, s52                                // 000000004FBC: D1ED0046 00D20905
	v_cmp_u_f32_e64 s[46:47], v82, v82                         // 000000004FC4: D048002E 0002A552
	v_add3_u32 v16, v82, v19, 1                                // 000000004FCC: D1FF0010 02062752
	v_cndmask_b32_e64 v4, v16, v18, s[46:47]                   // 000000004FD4: D1000004 00BA2510
	v_cmp_u_f32_e64 s[46:47], v83, v83                         // 000000004FDC: D048002E 0002A753
	v_add3_u32 v16, v83, v19, 1                                // 000000004FE4: D1FF0010 02062753
	v_cndmask_b32_e64 v5, v16, v18, s[46:47]                   // 000000004FEC: D1000005 00BA2510
	v_perm_b32 v71, v5, v4, s52                                // 000000004FF4: D1ED0047 00D20905
	v_cmp_u_f32_e64 s[46:47], v84, v84                         // 000000004FFC: D048002E 0002A954
	v_add3_u32 v16, v84, v19, 1                                // 000000005004: D1FF0010 02062754
	v_cndmask_b32_e64 v4, v16, v18, s[46:47]                   // 00000000500C: D1000004 00BA2510
	v_cmp_u_f32_e64 s[46:47], v85, v85                         // 000000005014: D048002E 0002AB55
	v_add3_u32 v16, v85, v19, 1                                // 00000000501C: D1FF0010 02062755
	v_cndmask_b32_e64 v5, v16, v18, s[46:47]                   // 000000005024: D1000005 00BA2510
	v_perm_b32 v72, v5, v4, s52                                // 00000000502C: D1ED0048 00D20905
	v_cmp_u_f32_e64 s[46:47], v86, v86                         // 000000005034: D048002E 0002AD56
	v_add3_u32 v16, v86, v19, 1                                // 00000000503C: D1FF0010 02062756
	v_cndmask_b32_e64 v4, v16, v18, s[46:47]                   // 000000005044: D1000004 00BA2510
	v_cmp_u_f32_e64 s[46:47], v87, v87                         // 00000000504C: D048002E 0002AF57
	v_add3_u32 v16, v87, v19, 1                                // 000000005054: D1FF0010 02062757
	v_cndmask_b32_e64 v5, v16, v18, s[46:47]                   // 00000000505C: D1000005 00BA2510
	v_perm_b32 v73, v5, v4, s52                                // 000000005064: D1ED0049 00D20905
	v_cmp_u_f32_e64 s[46:47], v88, v88                         // 00000000506C: D048002E 0002B158
	v_add3_u32 v16, v88, v19, 1                                // 000000005074: D1FF0010 02062758
	v_cndmask_b32_e64 v4, v16, v18, s[46:47]                   // 00000000507C: D1000004 00BA2510
	v_cmp_u_f32_e64 s[46:47], v89, v89                         // 000000005084: D048002E 0002B359
	v_add3_u32 v16, v89, v19, 1                                // 00000000508C: D1FF0010 02062759
	v_cndmask_b32_e64 v5, v16, v18, s[46:47]                   // 000000005094: D1000005 00BA2510
	v_perm_b32 v74, v5, v4, s52                                // 00000000509C: D1ED004A 00D20905
	v_cmp_u_f32_e64 s[46:47], v90, v90                         // 0000000050A4: D048002E 0002B55A
	v_add3_u32 v16, v90, v19, 1                                // 0000000050AC: D1FF0010 0206275A
	v_cndmask_b32_e64 v4, v16, v18, s[46:47]                   // 0000000050B4: D1000004 00BA2510
	v_cmp_u_f32_e64 s[46:47], v91, v91                         // 0000000050BC: D048002E 0002B75B
	v_add3_u32 v16, v91, v19, 1                                // 0000000050C4: D1FF0010 0206275B
	v_cndmask_b32_e64 v5, v16, v18, s[46:47]                   // 0000000050CC: D1000005 00BA2510
	v_perm_b32 v75, v5, v4, s52                                // 0000000050D4: D1ED004B 00D20905
	v_cmp_u_f32_e64 s[46:47], v92, v92                         // 0000000050DC: D048002E 0002B95C
	v_add3_u32 v16, v92, v19, 1                                // 0000000050E4: D1FF0010 0206275C
	v_cndmask_b32_e64 v4, v16, v18, s[46:47]                   // 0000000050EC: D1000004 00BA2510
	v_cmp_u_f32_e64 s[46:47], v93, v93                         // 0000000050F4: D048002E 0002BB5D
	v_add3_u32 v16, v93, v19, 1                                // 0000000050FC: D1FF0010 0206275D
	v_cndmask_b32_e64 v5, v16, v18, s[46:47]                   // 000000005104: D1000005 00BA2510
	v_perm_b32 v76, v5, v4, s52                                // 00000000510C: D1ED004C 00D20905
	v_cmp_u_f32_e64 s[46:47], v94, v94                         // 000000005114: D048002E 0002BD5E
	v_add3_u32 v16, v94, v19, 1                                // 00000000511C: D1FF0010 0206275E
	v_cndmask_b32_e64 v4, v16, v18, s[46:47]                   // 000000005124: D1000004 00BA2510
	v_cmp_u_f32_e64 s[46:47], v95, v95                         // 00000000512C: D048002E 0002BF5F
	v_add3_u32 v16, v95, v19, 1                                // 000000005134: D1FF0010 0206275F
	v_cndmask_b32_e64 v5, v16, v18, s[46:47]                   // 00000000513C: D1000005 00BA2510
	v_perm_b32 v77, v5, v4, s52                                // 000000005144: D1ED004D 00D20905
	v_cmp_u_f32_e64 s[46:47], v96, v96                         // 00000000514C: D048002E 0002C160
	v_add3_u32 v16, v96, v19, 1                                // 000000005154: D1FF0010 02062760
	v_cndmask_b32_e64 v4, v16, v18, s[46:47]                   // 00000000515C: D1000004 00BA2510
	v_cmp_u_f32_e64 s[46:47], v97, v97                         // 000000005164: D048002E 0002C361
	v_add3_u32 v16, v97, v19, 1                                // 00000000516C: D1FF0010 02062761
	v_cndmask_b32_e64 v5, v16, v18, s[46:47]                   // 000000005174: D1000005 00BA2510
	v_perm_b32 v78, v5, v4, s52                                // 00000000517C: D1ED004E 00D20905
	v_cmp_u_f32_e64 s[46:47], v98, v98                         // 000000005184: D048002E 0002C562
	v_add3_u32 v16, v98, v19, 1                                // 00000000518C: D1FF0010 02062762
	v_cndmask_b32_e64 v4, v16, v18, s[46:47]                   // 000000005194: D1000004 00BA2510
	v_cmp_u_f32_e64 s[46:47], v99, v99                         // 00000000519C: D048002E 0002C763
	v_add3_u32 v16, v99, v19, 1                                // 0000000051A4: D1FF0010 02062763
	v_cndmask_b32_e64 v5, v16, v18, s[46:47]                   // 0000000051AC: D1000005 00BA2510
	v_perm_b32 v79, v5, v4, s52                                // 0000000051B4: D1ED004F 00D20905
	ds_write_b64 v20, v[60:61]                                 // 0000000051BC: D89A0000 00003C14
	ds_write_b64 v20, v[62:63] offset:4352                     // 0000000051C4: D89A1100 00003E14
	ds_write_b64 v20, v[64:65] offset:8704                     // 0000000051CC: D89A2200 00004014
	ds_write_b64 v20, v[66:67] offset:13056                    // 0000000051D4: D89A3300 00004214
	ds_write_b64 v20, v[68:69] offset:17408                    // 0000000051DC: D89A4400 00004414
	ds_write_b64 v20, v[70:71] offset:2176                     // 0000000051E4: D89A0880 00004614
	ds_write_b64 v20, v[72:73] offset:6528                     // 0000000051EC: D89A1980 00004814
	ds_write_b64 v20, v[74:75] offset:10880                    // 0000000051F4: D89A2A80 00004A14
	ds_write_b64 v20, v[76:77] offset:15232                    // 0000000051FC: D89A3B80 00004C14
	ds_write_b64 v20, v[78:79] offset:19584                    // 000000005204: D89A4C80 00004E14
	v_lshrrev_b32_e32 v4, 5, v0                                // 00000000520C: 20080085
	v_xor_b32_e32 v5, 1, v4                                    // 000000005210: 2A0A0881
	s_mul_i32 s60, s65, 2                                      // 000000005214: 923C8241
	s_cmp_eq_u32 s88, 0                                        // 000000005218: BF068058
	s_cselect_b32 s61, 1, 4                                    // 00000000521C: 853D8481
	s_mul_i32 s60, s61, s60                                    // 000000005220: 923C3C3D
	v_readlane_b32 s82, v3, 0                                  // 000000005224: D2890052 00010103
	s_lshr_b32 s61, s82, 24                                    // 00000000522C: 8F3D9852
	s_and_b32 s82, s82, 0xffffff                               // 000000005230: 8652FF52 00FFFFFF
	s_mul_i32 s82, s82, s71                                    // 000000005238: 92524752
	s_mul_i32 s61, s60, s61                                    // 00000000523C: 923D3D3C
	s_add_u32 s82, s82, s61                                    // 000000005240: 80523D52
	v_mul_lo_u32 v6, v5, s82                                   // 000000005244: D2850006 0000A505
	v_readlane_b32 s82, v3, 1                                  // 00000000524C: D2890052 00010303
	s_lshr_b32 s61, s82, 24                                    // 000000005254: 8F3D9852
	s_and_b32 s82, s82, 0xffffff                               // 000000005258: 8652FF52 00FFFFFF
	s_mul_i32 s82, s82, s71                                    // 000000005260: 92524752
	s_mul_i32 s61, s60, s61                                    // 000000005264: 923D3D3C
	s_add_u32 s82, s82, s61                                    // 000000005268: 80523D52
	v_mul_lo_u32 v7, v4, s82                                   // 00000000526C: D2850007 0000A504
	v_add_u32_e32 v48, v6, v7                                  // 000000005274: 68600F06
	v_readlane_b32 s82, v3, 2                                  // 000000005278: D2890052 00010503
	s_lshr_b32 s61, s82, 24                                    // 000000005280: 8F3D9852
	s_and_b32 s82, s82, 0xffffff                               // 000000005284: 8652FF52 00FFFFFF
	s_mul_i32 s82, s82, s71                                    // 00000000528C: 92524752
	s_mul_i32 s61, s60, s61                                    // 000000005290: 923D3D3C
	s_add_u32 s82, s82, s61                                    // 000000005294: 80523D52
	v_mul_lo_u32 v6, v5, s82                                   // 000000005298: D2850006 0000A505
	v_readlane_b32 s82, v3, 3                                  // 0000000052A0: D2890052 00010703
	s_lshr_b32 s61, s82, 24                                    // 0000000052A8: 8F3D9852
	s_and_b32 s82, s82, 0xffffff                               // 0000000052AC: 8652FF52 00FFFFFF
	s_mul_i32 s82, s82, s71                                    // 0000000052B4: 92524752
	s_mul_i32 s61, s60, s61                                    // 0000000052B8: 923D3D3C
	s_add_u32 s82, s82, s61                                    // 0000000052BC: 80523D52
	v_mul_lo_u32 v7, v4, s82                                   // 0000000052C0: D2850007 0000A504
	v_add_u32_e32 v49, v6, v7                                  // 0000000052C8: 68620F06
	v_readlane_b32 s82, v3, 4                                  // 0000000052CC: D2890052 00010903
	s_lshr_b32 s61, s82, 24                                    // 0000000052D4: 8F3D9852
	s_and_b32 s82, s82, 0xffffff                               // 0000000052D8: 8652FF52 00FFFFFF
	s_mul_i32 s82, s82, s71                                    // 0000000052E0: 92524752
	s_mul_i32 s61, s60, s61                                    // 0000000052E4: 923D3D3C
	s_add_u32 s82, s82, s61                                    // 0000000052E8: 80523D52
	v_mul_lo_u32 v6, v5, s82                                   // 0000000052EC: D2850006 0000A505
	v_readlane_b32 s82, v3, 5                                  // 0000000052F4: D2890052 00010B03
	s_lshr_b32 s61, s82, 24                                    // 0000000052FC: 8F3D9852
	s_and_b32 s82, s82, 0xffffff                               // 000000005300: 8652FF52 00FFFFFF
	s_mul_i32 s82, s82, s71                                    // 000000005308: 92524752
	s_mul_i32 s61, s60, s61                                    // 00000000530C: 923D3D3C
	s_add_u32 s82, s82, s61                                    // 000000005310: 80523D52
	v_mul_lo_u32 v7, v4, s82                                   // 000000005314: D2850007 0000A504
	v_add_u32_e32 v50, v6, v7                                  // 00000000531C: 68640F06
	v_readlane_b32 s82, v3, 6                                  // 000000005320: D2890052 00010D03
	s_lshr_b32 s61, s82, 24                                    // 000000005328: 8F3D9852
	s_and_b32 s82, s82, 0xffffff                               // 00000000532C: 8652FF52 00FFFFFF
	s_mul_i32 s82, s82, s71                                    // 000000005334: 92524752
	s_mul_i32 s61, s60, s61                                    // 000000005338: 923D3D3C
	s_add_u32 s82, s82, s61                                    // 00000000533C: 80523D52
	v_mul_lo_u32 v6, v5, s82                                   // 000000005340: D2850006 0000A505
	v_readlane_b32 s82, v3, 7                                  // 000000005348: D2890052 00010F03
	s_lshr_b32 s61, s82, 24                                    // 000000005350: 8F3D9852
	s_and_b32 s82, s82, 0xffffff                               // 000000005354: 8652FF52 00FFFFFF
	s_mul_i32 s82, s82, s71                                    // 00000000535C: 92524752
	s_mul_i32 s61, s60, s61                                    // 000000005360: 923D3D3C
	s_add_u32 s82, s82, s61                                    // 000000005364: 80523D52
	v_mul_lo_u32 v7, v4, s82                                   // 000000005368: D2850007 0000A504
	v_add_u32_e32 v51, v6, v7                                  // 000000005370: 68660F06
	v_readlane_b32 s82, v3, 8                                  // 000000005374: D2890052 00011103
	s_lshr_b32 s61, s82, 24                                    // 00000000537C: 8F3D9852
	s_and_b32 s82, s82, 0xffffff                               // 000000005380: 8652FF52 00FFFFFF
	s_mul_i32 s82, s82, s71                                    // 000000005388: 92524752
	s_mul_i32 s61, s60, s61                                    // 00000000538C: 923D3D3C
	s_add_u32 s82, s82, s61                                    // 000000005390: 80523D52
	v_mul_lo_u32 v6, v5, s82                                   // 000000005394: D2850006 0000A505
	v_readlane_b32 s82, v3, 9                                  // 00000000539C: D2890052 00011303
	s_lshr_b32 s61, s82, 24                                    // 0000000053A4: 8F3D9852
	s_and_b32 s82, s82, 0xffffff                               // 0000000053A8: 8652FF52 00FFFFFF
	s_mul_i32 s82, s82, s71                                    // 0000000053B0: 92524752
	s_mul_i32 s61, s60, s61                                    // 0000000053B4: 923D3D3C
	s_add_u32 s82, s82, s61                                    // 0000000053B8: 80523D52
	v_mul_lo_u32 v7, v4, s82                                   // 0000000053BC: D2850007 0000A504
	v_add_u32_e32 v52, v6, v7                                  // 0000000053C4: 68680F06
	v_readlane_b32 s82, v3, 10                                 // 0000000053C8: D2890052 00011503
	s_lshr_b32 s61, s82, 24                                    // 0000000053D0: 8F3D9852
	s_and_b32 s82, s82, 0xffffff                               // 0000000053D4: 8652FF52 00FFFFFF
	s_mul_i32 s82, s82, s71                                    // 0000000053DC: 92524752
	s_mul_i32 s61, s60, s61                                    // 0000000053E0: 923D3D3C
	s_add_u32 s82, s82, s61                                    // 0000000053E4: 80523D52
	v_mul_lo_u32 v6, v5, s82                                   // 0000000053E8: D2850006 0000A505
	v_readlane_b32 s82, v3, 11                                 // 0000000053F0: D2890052 00011703
	s_lshr_b32 s61, s82, 24                                    // 0000000053F8: 8F3D9852
	s_and_b32 s82, s82, 0xffffff                               // 0000000053FC: 8652FF52 00FFFFFF
	s_mul_i32 s82, s82, s71                                    // 000000005404: 92524752
	s_mul_i32 s61, s60, s61                                    // 000000005408: 923D3D3C
	s_add_u32 s82, s82, s61                                    // 00000000540C: 80523D52
	v_mul_lo_u32 v7, v4, s82                                   // 000000005410: D2850007 0000A504
	v_add_u32_e32 v53, v6, v7                                  // 000000005418: 686A0F06
	v_readlane_b32 s82, v3, 12                                 // 00000000541C: D2890052 00011903
	s_lshr_b32 s61, s82, 24                                    // 000000005424: 8F3D9852
	s_and_b32 s82, s82, 0xffffff                               // 000000005428: 8652FF52 00FFFFFF
	s_mul_i32 s82, s82, s71                                    // 000000005430: 92524752
	s_mul_i32 s61, s60, s61                                    // 000000005434: 923D3D3C
	s_add_u32 s82, s82, s61                                    // 000000005438: 80523D52
	v_mul_lo_u32 v6, v5, s82                                   // 00000000543C: D2850006 0000A505
	v_readlane_b32 s82, v3, 13                                 // 000000005444: D2890052 00011B03
	s_lshr_b32 s61, s82, 24                                    // 00000000544C: 8F3D9852
	s_and_b32 s82, s82, 0xffffff                               // 000000005450: 8652FF52 00FFFFFF
	s_mul_i32 s82, s82, s71                                    // 000000005458: 92524752
	s_mul_i32 s61, s60, s61                                    // 00000000545C: 923D3D3C
	s_add_u32 s82, s82, s61                                    // 000000005460: 80523D52
	v_mul_lo_u32 v7, v4, s82                                   // 000000005464: D2850007 0000A504
	v_add_u32_e32 v54, v6, v7                                  // 00000000546C: 686C0F06
	v_readlane_b32 s82, v3, 14                                 // 000000005470: D2890052 00011D03
	s_lshr_b32 s61, s82, 24                                    // 000000005478: 8F3D9852
	s_and_b32 s82, s82, 0xffffff                               // 00000000547C: 8652FF52 00FFFFFF
	s_mul_i32 s82, s82, s71                                    // 000000005484: 92524752
	s_mul_i32 s61, s60, s61                                    // 000000005488: 923D3D3C
	s_add_u32 s82, s82, s61                                    // 00000000548C: 80523D52
	v_mul_lo_u32 v6, v5, s82                                   // 000000005490: D2850006 0000A505
	v_readlane_b32 s82, v3, 15                                 // 000000005498: D2890052 00011F03
	s_lshr_b32 s61, s82, 24                                    // 0000000054A0: 8F3D9852
	s_and_b32 s82, s82, 0xffffff                               // 0000000054A4: 8652FF52 00FFFFFF
	s_mul_i32 s82, s82, s71                                    // 0000000054AC: 92524752
	s_mul_i32 s61, s60, s61                                    // 0000000054B0: 923D3D3C
	s_add_u32 s82, s82, s61                                    // 0000000054B4: 80523D52
	v_mul_lo_u32 v7, v4, s82                                   // 0000000054B8: D2850007 0000A504
	v_add_u32_e32 v55, v6, v7                                  // 0000000054C0: 686E0F06
	v_readlane_b32 s82, v3, 16                                 // 0000000054C4: D2890052 00012103
	s_lshr_b32 s61, s82, 24                                    // 0000000054CC: 8F3D9852
	s_and_b32 s82, s82, 0xffffff                               // 0000000054D0: 8652FF52 00FFFFFF
	s_mul_i32 s82, s82, s71                                    // 0000000054D8: 92524752
	s_mul_i32 s61, s60, s61                                    // 0000000054DC: 923D3D3C
	s_add_u32 s82, s82, s61                                    // 0000000054E0: 80523D52
	v_mul_lo_u32 v6, v5, s82                                   // 0000000054E4: D2850006 0000A505
	v_readlane_b32 s82, v3, 17                                 // 0000000054EC: D2890052 00012303
	s_lshr_b32 s61, s82, 24                                    // 0000000054F4: 8F3D9852
	s_and_b32 s82, s82, 0xffffff                               // 0000000054F8: 8652FF52 00FFFFFF
	s_mul_i32 s82, s82, s71                                    // 000000005500: 92524752
	s_mul_i32 s61, s60, s61                                    // 000000005504: 923D3D3C
	s_add_u32 s82, s82, s61                                    // 000000005508: 80523D52
	v_mul_lo_u32 v7, v4, s82                                   // 00000000550C: D2850007 0000A504
	v_add_u32_e32 v56, v6, v7                                  // 000000005514: 68700F06
	v_readlane_b32 s82, v3, 18                                 // 000000005518: D2890052 00012503
	s_lshr_b32 s61, s82, 24                                    // 000000005520: 8F3D9852
	s_and_b32 s82, s82, 0xffffff                               // 000000005524: 8652FF52 00FFFFFF
	s_mul_i32 s82, s82, s71                                    // 00000000552C: 92524752
	s_mul_i32 s61, s60, s61                                    // 000000005530: 923D3D3C
	s_add_u32 s82, s82, s61                                    // 000000005534: 80523D52
	v_mul_lo_u32 v6, v5, s82                                   // 000000005538: D2850006 0000A505
	v_readlane_b32 s82, v3, 19                                 // 000000005540: D2890052 00012703
	s_lshr_b32 s61, s82, 24                                    // 000000005548: 8F3D9852
	s_and_b32 s82, s82, 0xffffff                               // 00000000554C: 8652FF52 00FFFFFF
	s_mul_i32 s82, s82, s71                                    // 000000005554: 92524752
	s_mul_i32 s61, s60, s61                                    // 000000005558: 923D3D3C
	s_add_u32 s82, s82, s61                                    // 00000000555C: 80523D52
	v_mul_lo_u32 v7, v4, s82                                   // 000000005560: D2850007 0000A504
	v_add_u32_e32 v57, v6, v7                                  // 000000005568: 68720F06
	v_and_b32_e32 v4, 31, v0                                   // 00000000556C: 2608009F
	v_lshrrev_b32_e32 v4, 1, v4                                // 000000005570: 20080881
	s_cmp_eq_u32 s88, 0                                        // 000000005574: BF068058
	s_cselect_b32 s61, 2, 4                                    // 000000005578: 853D8482
	v_mul_lo_u32 v4, v4, s61                                   // 00000000557C: D2850004 00007B04
	v_and_b32_e64 v5, v0, 1                                    // 000000005584: D1130005 00010300
	v_add_u32_e32 v4, v4, v5                                   // 00000000558C: 68080B04
	v_lshlrev_b32_e32 v4, 2, v4                                // 000000005590: 24080882
	v_add_u32_e32 v48, v48, v4                                 // 000000005594: 68600930
	v_add_u32_e32 v49, v49, v4                                 // 000000005598: 68620931
	v_add_u32_e32 v50, v50, v4                                 // 00000000559C: 68640932
	v_add_u32_e32 v51, v51, v4                                 // 0000000055A0: 68660933
	v_add_u32_e32 v52, v52, v4                                 // 0000000055A4: 68680934
	v_add_u32_e32 v53, v53, v4                                 // 0000000055A8: 686A0935
	v_add_u32_e32 v54, v54, v4                                 // 0000000055AC: 686C0936
	v_add_u32_e32 v55, v55, v4                                 // 0000000055B0: 686E0937
	v_add_u32_e32 v56, v56, v4                                 // 0000000055B4: 68700938
	v_add_u32_e32 v57, v57, v4                                 // 0000000055B8: 68720939
	s_waitcnt lgkmcnt(0)                                       // 0000000055BC: BF8CC07F
	s_barrier                                                  // 0000000055C0: BF8A0000
	ds_read_b32 v60, v21                                       // 0000000055C4: D86C0000 3C000015
	ds_read_b32 v61, v21 offset:64                             // 0000000055CC: D86C0040 3D000015
	ds_read_b32 v62, v21 offset:2176                           // 0000000055D4: D86C0880 3E000015
	ds_read_b32 v63, v21 offset:2240                           // 0000000055DC: D86C08C0 3F000015
	ds_read_b32 v64, v21 offset:4352                           // 0000000055E4: D86C1100 40000015
	ds_read_b32 v65, v21 offset:4416                           // 0000000055EC: D86C1140 41000015
	ds_read_b32 v66, v21 offset:6528                           // 0000000055F4: D86C1980 42000015
	ds_read_b32 v67, v21 offset:6592                           // 0000000055FC: D86C19C0 43000015
	ds_read_b32 v68, v21 offset:8704                           // 000000005604: D86C2200 44000015
	ds_read_b32 v69, v21 offset:8768                           // 00000000560C: D86C2240 45000015
	ds_read_b32 v70, v21 offset:10880                          // 000000005614: D86C2A80 46000015
	ds_read_b32 v71, v21 offset:10944                          // 00000000561C: D86C2AC0 47000015
	ds_read_b32 v72, v21 offset:13056                          // 000000005624: D86C3300 48000015
	ds_read_b32 v73, v21 offset:13120                          // 00000000562C: D86C3340 49000015
	ds_read_b32 v74, v21 offset:15232                          // 000000005634: D86C3B80 4A000015
	ds_read_b32 v75, v21 offset:15296                          // 00000000563C: D86C3BC0 4B000015
	ds_read_b32 v76, v21 offset:17408                          // 000000005644: D86C4400 4C000015
	ds_read_b32 v77, v21 offset:17472                          // 00000000564C: D86C4440 4D000015
	ds_read_b32 v78, v21 offset:19584                          // 000000005654: D86C4C80 4E000015
	ds_read_b32 v79, v21 offset:19648                          // 00000000565C: D86C4CC0 4F000015
	s_waitcnt lgkmcnt(0)                                       // 000000005664: BF8CC07F
	s_mov_b32 s36, -1                                          // 000000005668: BEA400C1
	s_mov_b32 s37, -1                                          // 00000000566C: BEA500C1
	v_mov_b32_e32 v7, 0                                        // 000000005670: 7E0E0280
	s_or_b32 s9, s9, 0x40000                                   // 000000005674: 8709FF09 00040000
	s_mov_b64 exec, s[36:37]                                   // 00000000567C: BEFE0124
	v_mov_b32_e32 v6, v48                                      // 000000005680: 7E0C0330
	s_mov_b64 s[60:61], 0                                      // 000000005684: BEBC0180
	v_readlane_b32 s82, v3, 0                                  // 000000005688: D2890052 00010103
	s_and_b32 s82, s82, 0xffffff                               // 000000005690: 8652FF52 00FFFFFF
	s_cmp_lt_u32 s82, s66                                      // 000000005698: BF0A4252
	s_cselect_b32 s20, s36, s60                                // 00000000569C: 85143C24
	v_readlane_b32 s82, v3, 1                                  // 0000000056A0: D2890052 00010303
	s_and_b32 s82, s82, 0xffffff                               // 0000000056A8: 8652FF52 00FFFFFF
	s_cmp_lt_u32 s82, s66                                      // 0000000056B0: BF0A4252
	s_cselect_b32 s21, s36, s60                                // 0000000056B4: 85153C24
	s_mov_b64 exec, s[20:21]                                   // 0000000056B8: BEFE0114
	buffer_store_dword v60, v6, s[8:11], 0 offen               // 0000000056BC: E0701000 80023C06
	buffer_store_dword v62, v6, s[8:11], 0 offen offset:128    // 0000000056C4: E0701080 80023E06
	s_mov_b64 exec, s[36:37]                                   // 0000000056CC: BEFE0124
	v_mov_b32_e32 v6, v49                                      // 0000000056D0: 7E0C0331
	s_mov_b64 s[60:61], 0                                      // 0000000056D4: BEBC0180
	v_readlane_b32 s82, v3, 2                                  // 0000000056D8: D2890052 00010503
	s_and_b32 s82, s82, 0xffffff                               // 0000000056E0: 8652FF52 00FFFFFF
	s_cmp_lt_u32 s82, s66                                      // 0000000056E8: BF0A4252
	s_cselect_b32 s20, s36, s60                                // 0000000056EC: 85143C24
	v_readlane_b32 s82, v3, 3                                  // 0000000056F0: D2890052 00010703
	s_and_b32 s82, s82, 0xffffff                               // 0000000056F8: 8652FF52 00FFFFFF
	s_cmp_lt_u32 s82, s66                                      // 000000005700: BF0A4252
	s_cselect_b32 s21, s36, s60                                // 000000005704: 85153C24
	s_mov_b64 exec, s[20:21]                                   // 000000005708: BEFE0114
	buffer_store_dword v61, v6, s[8:11], 0 offen               // 00000000570C: E0701000 80023D06
	buffer_store_dword v63, v6, s[8:11], 0 offen offset:128    // 000000005714: E0701080 80023F06
	s_mov_b64 exec, s[36:37]                                   // 00000000571C: BEFE0124
	v_mov_b32_e32 v6, v50                                      // 000000005720: 7E0C0332
	s_mov_b64 s[60:61], 0                                      // 000000005724: BEBC0180
	v_readlane_b32 s82, v3, 4                                  // 000000005728: D2890052 00010903
	s_and_b32 s82, s82, 0xffffff                               // 000000005730: 8652FF52 00FFFFFF
	s_cmp_lt_u32 s82, s66                                      // 000000005738: BF0A4252
	s_cselect_b32 s20, s36, s60                                // 00000000573C: 85143C24
	v_readlane_b32 s82, v3, 5                                  // 000000005740: D2890052 00010B03
	s_and_b32 s82, s82, 0xffffff                               // 000000005748: 8652FF52 00FFFFFF
	s_cmp_lt_u32 s82, s66                                      // 000000005750: BF0A4252
	s_cselect_b32 s21, s36, s60                                // 000000005754: 85153C24
	s_mov_b64 exec, s[20:21]                                   // 000000005758: BEFE0114
	buffer_store_dword v64, v6, s[8:11], 0 offen               // 00000000575C: E0701000 80024006
	buffer_store_dword v66, v6, s[8:11], 0 offen offset:128    // 000000005764: E0701080 80024206
	s_mov_b64 exec, s[36:37]                                   // 00000000576C: BEFE0124
	v_mov_b32_e32 v6, v51                                      // 000000005770: 7E0C0333
	s_mov_b64 s[60:61], 0                                      // 000000005774: BEBC0180
	v_readlane_b32 s82, v3, 6                                  // 000000005778: D2890052 00010D03
	s_and_b32 s82, s82, 0xffffff                               // 000000005780: 8652FF52 00FFFFFF
	s_cmp_lt_u32 s82, s66                                      // 000000005788: BF0A4252
	s_cselect_b32 s20, s36, s60                                // 00000000578C: 85143C24
	v_readlane_b32 s82, v3, 7                                  // 000000005790: D2890052 00010F03
	s_and_b32 s82, s82, 0xffffff                               // 000000005798: 8652FF52 00FFFFFF
	s_cmp_lt_u32 s82, s66                                      // 0000000057A0: BF0A4252
	s_cselect_b32 s21, s36, s60                                // 0000000057A4: 85153C24
	s_mov_b64 exec, s[20:21]                                   // 0000000057A8: BEFE0114
	buffer_store_dword v65, v6, s[8:11], 0 offen               // 0000000057AC: E0701000 80024106
	buffer_store_dword v67, v6, s[8:11], 0 offen offset:128    // 0000000057B4: E0701080 80024306
	s_mov_b64 exec, s[36:37]                                   // 0000000057BC: BEFE0124
	v_mov_b32_e32 v6, v52                                      // 0000000057C0: 7E0C0334
	s_mov_b64 s[60:61], 0                                      // 0000000057C4: BEBC0180
	v_readlane_b32 s82, v3, 8                                  // 0000000057C8: D2890052 00011103
	s_and_b32 s82, s82, 0xffffff                               // 0000000057D0: 8652FF52 00FFFFFF
	s_cmp_lt_u32 s82, s66                                      // 0000000057D8: BF0A4252
	s_cselect_b32 s20, s36, s60                                // 0000000057DC: 85143C24
	v_readlane_b32 s82, v3, 9                                  // 0000000057E0: D2890052 00011303
	s_and_b32 s82, s82, 0xffffff                               // 0000000057E8: 8652FF52 00FFFFFF
	s_cmp_lt_u32 s82, s66                                      // 0000000057F0: BF0A4252
	s_cselect_b32 s21, s36, s60                                // 0000000057F4: 85153C24
	s_mov_b64 exec, s[20:21]                                   // 0000000057F8: BEFE0114
	buffer_store_dword v68, v6, s[8:11], 0 offen               // 0000000057FC: E0701000 80024406
	buffer_store_dword v70, v6, s[8:11], 0 offen offset:128    // 000000005804: E0701080 80024606
	s_mov_b64 exec, s[36:37]                                   // 00000000580C: BEFE0124
	v_mov_b32_e32 v6, v53                                      // 000000005810: 7E0C0335
	s_mov_b64 s[60:61], 0                                      // 000000005814: BEBC0180
	v_readlane_b32 s82, v3, 10                                 // 000000005818: D2890052 00011503
	s_and_b32 s82, s82, 0xffffff                               // 000000005820: 8652FF52 00FFFFFF
	s_cmp_lt_u32 s82, s66                                      // 000000005828: BF0A4252
	s_cselect_b32 s20, s36, s60                                // 00000000582C: 85143C24
	v_readlane_b32 s82, v3, 11                                 // 000000005830: D2890052 00011703
	s_and_b32 s82, s82, 0xffffff                               // 000000005838: 8652FF52 00FFFFFF
	s_cmp_lt_u32 s82, s66                                      // 000000005840: BF0A4252
	s_cselect_b32 s21, s36, s60                                // 000000005844: 85153C24
	s_mov_b64 exec, s[20:21]                                   // 000000005848: BEFE0114
	buffer_store_dword v69, v6, s[8:11], 0 offen               // 00000000584C: E0701000 80024506
	buffer_store_dword v71, v6, s[8:11], 0 offen offset:128    // 000000005854: E0701080 80024706
	s_mov_b64 exec, s[36:37]                                   // 00000000585C: BEFE0124
	v_mov_b32_e32 v6, v54                                      // 000000005860: 7E0C0336
	s_mov_b64 s[60:61], 0                                      // 000000005864: BEBC0180
	v_readlane_b32 s82, v3, 12                                 // 000000005868: D2890052 00011903
	s_and_b32 s82, s82, 0xffffff                               // 000000005870: 8652FF52 00FFFFFF
	s_cmp_lt_u32 s82, s66                                      // 000000005878: BF0A4252
	s_cselect_b32 s20, s36, s60                                // 00000000587C: 85143C24
	v_readlane_b32 s82, v3, 13                                 // 000000005880: D2890052 00011B03
	s_and_b32 s82, s82, 0xffffff                               // 000000005888: 8652FF52 00FFFFFF
	s_cmp_lt_u32 s82, s66                                      // 000000005890: BF0A4252
	s_cselect_b32 s21, s36, s60                                // 000000005894: 85153C24
	s_mov_b64 exec, s[20:21]                                   // 000000005898: BEFE0114
	buffer_store_dword v72, v6, s[8:11], 0 offen               // 00000000589C: E0701000 80024806
	buffer_store_dword v74, v6, s[8:11], 0 offen offset:128    // 0000000058A4: E0701080 80024A06
	s_mov_b64 exec, s[36:37]                                   // 0000000058AC: BEFE0124
	v_mov_b32_e32 v6, v55                                      // 0000000058B0: 7E0C0337
	s_mov_b64 s[60:61], 0                                      // 0000000058B4: BEBC0180
	v_readlane_b32 s82, v3, 14                                 // 0000000058B8: D2890052 00011D03
	s_and_b32 s82, s82, 0xffffff                               // 0000000058C0: 8652FF52 00FFFFFF
	s_cmp_lt_u32 s82, s66                                      // 0000000058C8: BF0A4252
	s_cselect_b32 s20, s36, s60                                // 0000000058CC: 85143C24
	v_readlane_b32 s82, v3, 15                                 // 0000000058D0: D2890052 00011F03
	s_and_b32 s82, s82, 0xffffff                               // 0000000058D8: 8652FF52 00FFFFFF
	s_cmp_lt_u32 s82, s66                                      // 0000000058E0: BF0A4252
	s_cselect_b32 s21, s36, s60                                // 0000000058E4: 85153C24
	s_mov_b64 exec, s[20:21]                                   // 0000000058E8: BEFE0114
	buffer_store_dword v73, v6, s[8:11], 0 offen               // 0000000058EC: E0701000 80024906
	buffer_store_dword v75, v6, s[8:11], 0 offen offset:128    // 0000000058F4: E0701080 80024B06
	s_mov_b64 exec, s[36:37]                                   // 0000000058FC: BEFE0124
	v_mov_b32_e32 v6, v56                                      // 000000005900: 7E0C0338
	s_mov_b64 s[60:61], 0                                      // 000000005904: BEBC0180
	v_readlane_b32 s82, v3, 16                                 // 000000005908: D2890052 00012103
	s_and_b32 s82, s82, 0xffffff                               // 000000005910: 8652FF52 00FFFFFF
	s_cmp_lt_u32 s82, s66                                      // 000000005918: BF0A4252
	s_cselect_b32 s20, s36, s60                                // 00000000591C: 85143C24
	v_readlane_b32 s82, v3, 17                                 // 000000005920: D2890052 00012303
	s_and_b32 s82, s82, 0xffffff                               // 000000005928: 8652FF52 00FFFFFF
	s_cmp_lt_u32 s82, s66                                      // 000000005930: BF0A4252
	s_cselect_b32 s21, s36, s60                                // 000000005934: 85153C24
	s_mov_b64 exec, s[20:21]                                   // 000000005938: BEFE0114
	buffer_store_dword v76, v6, s[8:11], 0 offen               // 00000000593C: E0701000 80024C06
	buffer_store_dword v78, v6, s[8:11], 0 offen offset:128    // 000000005944: E0701080 80024E06
	s_mov_b64 exec, s[36:37]                                   // 00000000594C: BEFE0124
	v_mov_b32_e32 v6, v57                                      // 000000005950: 7E0C0339
	s_mov_b64 s[60:61], 0                                      // 000000005954: BEBC0180
	v_readlane_b32 s82, v3, 18                                 // 000000005958: D2890052 00012503
	s_and_b32 s82, s82, 0xffffff                               // 000000005960: 8652FF52 00FFFFFF
	s_cmp_lt_u32 s82, s66                                      // 000000005968: BF0A4252
	s_cselect_b32 s20, s36, s60                                // 00000000596C: 85143C24
	v_readlane_b32 s82, v3, 19                                 // 000000005970: D2890052 00012703
	s_and_b32 s82, s82, 0xffffff                               // 000000005978: 8652FF52 00FFFFFF
	s_cmp_lt_u32 s82, s66                                      // 000000005980: BF0A4252
	s_cselect_b32 s21, s36, s60                                // 000000005984: 85153C24
	s_mov_b64 exec, s[20:21]                                   // 000000005988: BEFE0114
	buffer_store_dword v77, v6, s[8:11], 0 offen               // 00000000598C: E0701000 80024D06
	buffer_store_dword v79, v6, s[8:11], 0 offen offset:128    // 000000005994: E0701080 80024F06
	s_mov_b64 exec, s[36:37]                                   // 00000000599C: BEFE0124
	s_branch label_1F56                                        // 0000000059A0: BF82136A

00000000000059a4 <label_0BE9>:
	ds_write_b64 v20, v[60:61]                                 // 0000000059A4: D89A0000 00003C14
	ds_write_b64 v20, v[64:65] offset:4352                     // 0000000059AC: D89A1100 00004014
	ds_write_b64 v20, v[68:69] offset:8704                     // 0000000059B4: D89A2200 00004414
	ds_write_b64 v20, v[72:73] offset:13056                    // 0000000059BC: D89A3300 00004814
	ds_write_b64 v20, v[76:77] offset:17408                    // 0000000059C4: D89A4400 00004C14
	ds_write_b64 v20, v[80:81] offset:2176                     // 0000000059CC: D89A0880 00005014
	ds_write_b64 v20, v[84:85] offset:6528                     // 0000000059D4: D89A1980 00005414
	ds_write_b64 v20, v[88:89] offset:10880                    // 0000000059DC: D89A2A80 00005814
	ds_write_b64 v20, v[92:93] offset:15232                    // 0000000059E4: D89A3B80 00005C14
	ds_write_b64 v20, v[96:97] offset:19584                    // 0000000059EC: D89A4C80 00006014
	v_lshrrev_b32_e32 v4, 5, v0                                // 0000000059F4: 20080085
	v_xor_b32_e32 v5, 1, v4                                    // 0000000059F8: 2A0A0881
	s_mul_i32 s60, s65, 2                                      // 0000000059FC: 923C8241
	s_cmp_eq_u32 s88, 0                                        // 000000005A00: BF068058
	s_cselect_b32 s61, 1, 4                                    // 000000005A04: 853D8481
	s_mul_i32 s60, s61, s60                                    // 000000005A08: 923C3C3D
	v_readlane_b32 s82, v3, 0                                  // 000000005A0C: D2890052 00010103
	s_lshr_b32 s61, s82, 24                                    // 000000005A14: 8F3D9852
	s_and_b32 s82, s82, 0xffffff                               // 000000005A18: 8652FF52 00FFFFFF
	s_mul_i32 s82, s82, s71                                    // 000000005A20: 92524752
	s_mul_i32 s61, s60, s61                                    // 000000005A24: 923D3D3C
	s_add_u32 s82, s82, s61                                    // 000000005A28: 80523D52
	v_mul_lo_u32 v6, v5, s82                                   // 000000005A2C: D2850006 0000A505
	v_readlane_b32 s82, v3, 1                                  // 000000005A34: D2890052 00010303
	s_lshr_b32 s61, s82, 24                                    // 000000005A3C: 8F3D9852
	s_and_b32 s82, s82, 0xffffff                               // 000000005A40: 8652FF52 00FFFFFF
	s_mul_i32 s82, s82, s71                                    // 000000005A48: 92524752
	s_mul_i32 s61, s60, s61                                    // 000000005A4C: 923D3D3C
	s_add_u32 s82, s82, s61                                    // 000000005A50: 80523D52
	v_mul_lo_u32 v7, v4, s82                                   // 000000005A54: D2850007 0000A504
	v_add_u32_e32 v48, v6, v7                                  // 000000005A5C: 68600F06
	v_readlane_b32 s82, v3, 2                                  // 000000005A60: D2890052 00010503
	s_lshr_b32 s61, s82, 24                                    // 000000005A68: 8F3D9852
	s_and_b32 s82, s82, 0xffffff                               // 000000005A6C: 8652FF52 00FFFFFF
	s_mul_i32 s82, s82, s71                                    // 000000005A74: 92524752
	s_mul_i32 s61, s60, s61                                    // 000000005A78: 923D3D3C
	s_add_u32 s82, s82, s61                                    // 000000005A7C: 80523D52
	v_mul_lo_u32 v6, v5, s82                                   // 000000005A80: D2850006 0000A505
	v_readlane_b32 s82, v3, 3                                  // 000000005A88: D2890052 00010703
	s_lshr_b32 s61, s82, 24                                    // 000000005A90: 8F3D9852
	s_and_b32 s82, s82, 0xffffff                               // 000000005A94: 8652FF52 00FFFFFF
	s_mul_i32 s82, s82, s71                                    // 000000005A9C: 92524752
	s_mul_i32 s61, s60, s61                                    // 000000005AA0: 923D3D3C
	s_add_u32 s82, s82, s61                                    // 000000005AA4: 80523D52
	v_mul_lo_u32 v7, v4, s82                                   // 000000005AA8: D2850007 0000A504
	v_add_u32_e32 v49, v6, v7                                  // 000000005AB0: 68620F06
	v_readlane_b32 s82, v3, 4                                  // 000000005AB4: D2890052 00010903
	s_lshr_b32 s61, s82, 24                                    // 000000005ABC: 8F3D9852
	s_and_b32 s82, s82, 0xffffff                               // 000000005AC0: 8652FF52 00FFFFFF
	s_mul_i32 s82, s82, s71                                    // 000000005AC8: 92524752
	s_mul_i32 s61, s60, s61                                    // 000000005ACC: 923D3D3C
	s_add_u32 s82, s82, s61                                    // 000000005AD0: 80523D52
	v_mul_lo_u32 v6, v5, s82                                   // 000000005AD4: D2850006 0000A505
	v_readlane_b32 s82, v3, 5                                  // 000000005ADC: D2890052 00010B03
	s_lshr_b32 s61, s82, 24                                    // 000000005AE4: 8F3D9852
	s_and_b32 s82, s82, 0xffffff                               // 000000005AE8: 8652FF52 00FFFFFF
	s_mul_i32 s82, s82, s71                                    // 000000005AF0: 92524752
	s_mul_i32 s61, s60, s61                                    // 000000005AF4: 923D3D3C
	s_add_u32 s82, s82, s61                                    // 000000005AF8: 80523D52
	v_mul_lo_u32 v7, v4, s82                                   // 000000005AFC: D2850007 0000A504
	v_add_u32_e32 v50, v6, v7                                  // 000000005B04: 68640F06
	v_readlane_b32 s82, v3, 6                                  // 000000005B08: D2890052 00010D03
	s_lshr_b32 s61, s82, 24                                    // 000000005B10: 8F3D9852
	s_and_b32 s82, s82, 0xffffff                               // 000000005B14: 8652FF52 00FFFFFF
	s_mul_i32 s82, s82, s71                                    // 000000005B1C: 92524752
	s_mul_i32 s61, s60, s61                                    // 000000005B20: 923D3D3C
	s_add_u32 s82, s82, s61                                    // 000000005B24: 80523D52
	v_mul_lo_u32 v6, v5, s82                                   // 000000005B28: D2850006 0000A505
	v_readlane_b32 s82, v3, 7                                  // 000000005B30: D2890052 00010F03
	s_lshr_b32 s61, s82, 24                                    // 000000005B38: 8F3D9852
	s_and_b32 s82, s82, 0xffffff                               // 000000005B3C: 8652FF52 00FFFFFF
	s_mul_i32 s82, s82, s71                                    // 000000005B44: 92524752
	s_mul_i32 s61, s60, s61                                    // 000000005B48: 923D3D3C
	s_add_u32 s82, s82, s61                                    // 000000005B4C: 80523D52
	v_mul_lo_u32 v7, v4, s82                                   // 000000005B50: D2850007 0000A504
	v_add_u32_e32 v51, v6, v7                                  // 000000005B58: 68660F06
	v_readlane_b32 s82, v3, 8                                  // 000000005B5C: D2890052 00011103
	s_lshr_b32 s61, s82, 24                                    // 000000005B64: 8F3D9852
	s_and_b32 s82, s82, 0xffffff                               // 000000005B68: 8652FF52 00FFFFFF
	s_mul_i32 s82, s82, s71                                    // 000000005B70: 92524752
	s_mul_i32 s61, s60, s61                                    // 000000005B74: 923D3D3C
	s_add_u32 s82, s82, s61                                    // 000000005B78: 80523D52
	v_mul_lo_u32 v6, v5, s82                                   // 000000005B7C: D2850006 0000A505
	v_readlane_b32 s82, v3, 9                                  // 000000005B84: D2890052 00011303
	s_lshr_b32 s61, s82, 24                                    // 000000005B8C: 8F3D9852
	s_and_b32 s82, s82, 0xffffff                               // 000000005B90: 8652FF52 00FFFFFF
	s_mul_i32 s82, s82, s71                                    // 000000005B98: 92524752
	s_mul_i32 s61, s60, s61                                    // 000000005B9C: 923D3D3C
	s_add_u32 s82, s82, s61                                    // 000000005BA0: 80523D52
	v_mul_lo_u32 v7, v4, s82                                   // 000000005BA4: D2850007 0000A504
	v_add_u32_e32 v52, v6, v7                                  // 000000005BAC: 68680F06
	v_readlane_b32 s82, v3, 10                                 // 000000005BB0: D2890052 00011503
	s_lshr_b32 s61, s82, 24                                    // 000000005BB8: 8F3D9852
	s_and_b32 s82, s82, 0xffffff                               // 000000005BBC: 8652FF52 00FFFFFF
	s_mul_i32 s82, s82, s71                                    // 000000005BC4: 92524752
	s_mul_i32 s61, s60, s61                                    // 000000005BC8: 923D3D3C
	s_add_u32 s82, s82, s61                                    // 000000005BCC: 80523D52
	v_mul_lo_u32 v6, v5, s82                                   // 000000005BD0: D2850006 0000A505
	v_readlane_b32 s82, v3, 11                                 // 000000005BD8: D2890052 00011703
	s_lshr_b32 s61, s82, 24                                    // 000000005BE0: 8F3D9852
	s_and_b32 s82, s82, 0xffffff                               // 000000005BE4: 8652FF52 00FFFFFF
	s_mul_i32 s82, s82, s71                                    // 000000005BEC: 92524752
	s_mul_i32 s61, s60, s61                                    // 000000005BF0: 923D3D3C
	s_add_u32 s82, s82, s61                                    // 000000005BF4: 80523D52
	v_mul_lo_u32 v7, v4, s82                                   // 000000005BF8: D2850007 0000A504
	v_add_u32_e32 v53, v6, v7                                  // 000000005C00: 686A0F06
	v_readlane_b32 s82, v3, 12                                 // 000000005C04: D2890052 00011903
	s_lshr_b32 s61, s82, 24                                    // 000000005C0C: 8F3D9852
	s_and_b32 s82, s82, 0xffffff                               // 000000005C10: 8652FF52 00FFFFFF
	s_mul_i32 s82, s82, s71                                    // 000000005C18: 92524752
	s_mul_i32 s61, s60, s61                                    // 000000005C1C: 923D3D3C
	s_add_u32 s82, s82, s61                                    // 000000005C20: 80523D52
	v_mul_lo_u32 v6, v5, s82                                   // 000000005C24: D2850006 0000A505
	v_readlane_b32 s82, v3, 13                                 // 000000005C2C: D2890052 00011B03
	s_lshr_b32 s61, s82, 24                                    // 000000005C34: 8F3D9852
	s_and_b32 s82, s82, 0xffffff                               // 000000005C38: 8652FF52 00FFFFFF
	s_mul_i32 s82, s82, s71                                    // 000000005C40: 92524752
	s_mul_i32 s61, s60, s61                                    // 000000005C44: 923D3D3C
	s_add_u32 s82, s82, s61                                    // 000000005C48: 80523D52
	v_mul_lo_u32 v7, v4, s82                                   // 000000005C4C: D2850007 0000A504
	v_add_u32_e32 v54, v6, v7                                  // 000000005C54: 686C0F06
	v_readlane_b32 s82, v3, 14                                 // 000000005C58: D2890052 00011D03
	s_lshr_b32 s61, s82, 24                                    // 000000005C60: 8F3D9852
	s_and_b32 s82, s82, 0xffffff                               // 000000005C64: 8652FF52 00FFFFFF
	s_mul_i32 s82, s82, s71                                    // 000000005C6C: 92524752
	s_mul_i32 s61, s60, s61                                    // 000000005C70: 923D3D3C
	s_add_u32 s82, s82, s61                                    // 000000005C74: 80523D52
	v_mul_lo_u32 v6, v5, s82                                   // 000000005C78: D2850006 0000A505
	v_readlane_b32 s82, v3, 15                                 // 000000005C80: D2890052 00011F03
	s_lshr_b32 s61, s82, 24                                    // 000000005C88: 8F3D9852
	s_and_b32 s82, s82, 0xffffff                               // 000000005C8C: 8652FF52 00FFFFFF
	s_mul_i32 s82, s82, s71                                    // 000000005C94: 92524752
	s_mul_i32 s61, s60, s61                                    // 000000005C98: 923D3D3C
	s_add_u32 s82, s82, s61                                    // 000000005C9C: 80523D52
	v_mul_lo_u32 v7, v4, s82                                   // 000000005CA0: D2850007 0000A504
	v_add_u32_e32 v55, v6, v7                                  // 000000005CA8: 686E0F06
	v_readlane_b32 s82, v3, 16                                 // 000000005CAC: D2890052 00012103
	s_lshr_b32 s61, s82, 24                                    // 000000005CB4: 8F3D9852
	s_and_b32 s82, s82, 0xffffff                               // 000000005CB8: 8652FF52 00FFFFFF
	s_mul_i32 s82, s82, s71                                    // 000000005CC0: 92524752
	s_mul_i32 s61, s60, s61                                    // 000000005CC4: 923D3D3C
	s_add_u32 s82, s82, s61                                    // 000000005CC8: 80523D52
	v_mul_lo_u32 v6, v5, s82                                   // 000000005CCC: D2850006 0000A505
	v_readlane_b32 s82, v3, 17                                 // 000000005CD4: D2890052 00012303
	s_lshr_b32 s61, s82, 24                                    // 000000005CDC: 8F3D9852
	s_and_b32 s82, s82, 0xffffff                               // 000000005CE0: 8652FF52 00FFFFFF
	s_mul_i32 s82, s82, s71                                    // 000000005CE8: 92524752
	s_mul_i32 s61, s60, s61                                    // 000000005CEC: 923D3D3C
	s_add_u32 s82, s82, s61                                    // 000000005CF0: 80523D52
	v_mul_lo_u32 v7, v4, s82                                   // 000000005CF4: D2850007 0000A504
	v_add_u32_e32 v56, v6, v7                                  // 000000005CFC: 68700F06
	v_readlane_b32 s82, v3, 18                                 // 000000005D00: D2890052 00012503
	s_lshr_b32 s61, s82, 24                                    // 000000005D08: 8F3D9852
	s_and_b32 s82, s82, 0xffffff                               // 000000005D0C: 8652FF52 00FFFFFF
	s_mul_i32 s82, s82, s71                                    // 000000005D14: 92524752
	s_mul_i32 s61, s60, s61                                    // 000000005D18: 923D3D3C
	s_add_u32 s82, s82, s61                                    // 000000005D1C: 80523D52
	v_mul_lo_u32 v6, v5, s82                                   // 000000005D20: D2850006 0000A505
	v_readlane_b32 s82, v3, 19                                 // 000000005D28: D2890052 00012703
	s_lshr_b32 s61, s82, 24                                    // 000000005D30: 8F3D9852
	s_and_b32 s82, s82, 0xffffff                               // 000000005D34: 8652FF52 00FFFFFF
	s_mul_i32 s82, s82, s71                                    // 000000005D3C: 92524752
	s_mul_i32 s61, s60, s61                                    // 000000005D40: 923D3D3C
	s_add_u32 s82, s82, s61                                    // 000000005D44: 80523D52
	v_mul_lo_u32 v7, v4, s82                                   // 000000005D48: D2850007 0000A504
	v_add_u32_e32 v57, v6, v7                                  // 000000005D50: 68720F06
	v_and_b32_e32 v4, 31, v0                                   // 000000005D54: 2608009F
	v_lshrrev_b32_e32 v4, 1, v4                                // 000000005D58: 20080881
	s_cmp_eq_u32 s88, 0                                        // 000000005D5C: BF068058
	s_cselect_b32 s61, 2, 4                                    // 000000005D60: 853D8482
	v_mul_lo_u32 v4, v4, s61                                   // 000000005D64: D2850004 00007B04
	v_and_b32_e64 v5, v0, 1                                    // 000000005D6C: D1130005 00010300
	v_add_u32_e32 v4, v4, v5                                   // 000000005D74: 68080B04
	v_lshlrev_b32_e32 v4, 2, v4                                // 000000005D78: 24080882
	v_add_u32_e32 v48, v48, v4                                 // 000000005D7C: 68600930
	v_add_u32_e32 v49, v49, v4                                 // 000000005D80: 68620931
	v_add_u32_e32 v50, v50, v4                                 // 000000005D84: 68640932
	v_add_u32_e32 v51, v51, v4                                 // 000000005D88: 68660933
	v_add_u32_e32 v52, v52, v4                                 // 000000005D8C: 68680934
	v_add_u32_e32 v53, v53, v4                                 // 000000005D90: 686A0935
	v_add_u32_e32 v54, v54, v4                                 // 000000005D94: 686C0936
	v_add_u32_e32 v55, v55, v4                                 // 000000005D98: 686E0937
	v_add_u32_e32 v56, v56, v4                                 // 000000005D9C: 68700938
	v_add_u32_e32 v57, v57, v4                                 // 000000005DA0: 68720939
	s_waitcnt lgkmcnt(0)                                       // 000000005DA4: BF8CC07F
	s_barrier                                                  // 000000005DA8: BF8A0000
	ds_read_b32 v60, v21                                       // 000000005DAC: D86C0000 3C000015
	ds_read_b32 v61, v21 offset:64                             // 000000005DB4: D86C0040 3D000015
	ds_read_b32 v64, v21 offset:2176                           // 000000005DBC: D86C0880 40000015
	ds_read_b32 v65, v21 offset:2240                           // 000000005DC4: D86C08C0 41000015
	ds_read_b32 v68, v21 offset:4352                           // 000000005DCC: D86C1100 44000015
	ds_read_b32 v69, v21 offset:4416                           // 000000005DD4: D86C1140 45000015
	ds_read_b32 v72, v21 offset:6528                           // 000000005DDC: D86C1980 48000015
	ds_read_b32 v73, v21 offset:6592                           // 000000005DE4: D86C19C0 49000015
	ds_read_b32 v76, v21 offset:8704                           // 000000005DEC: D86C2200 4C000015
	ds_read_b32 v77, v21 offset:8768                           // 000000005DF4: D86C2240 4D000015
	ds_read_b32 v80, v21 offset:10880                          // 000000005DFC: D86C2A80 50000015
	ds_read_b32 v81, v21 offset:10944                          // 000000005E04: D86C2AC0 51000015
	ds_read_b32 v84, v21 offset:13056                          // 000000005E0C: D86C3300 54000015
	ds_read_b32 v85, v21 offset:13120                          // 000000005E14: D86C3340 55000015
	ds_read_b32 v88, v21 offset:15232                          // 000000005E1C: D86C3B80 58000015
	ds_read_b32 v89, v21 offset:15296                          // 000000005E24: D86C3BC0 59000015
	ds_read_b32 v92, v21 offset:17408                          // 000000005E2C: D86C4400 5C000015
	ds_read_b32 v93, v21 offset:17472                          // 000000005E34: D86C4440 5D000015
	ds_read_b32 v96, v21 offset:19584                          // 000000005E3C: D86C4C80 60000015
	ds_read_b32 v97, v21 offset:19648                          // 000000005E44: D86C4CC0 61000015
	s_waitcnt lgkmcnt(0)                                       // 000000005E4C: BF8CC07F
	s_mov_b32 s36, -1                                          // 000000005E50: BEA400C1
	s_mov_b32 s37, -1                                          // 000000005E54: BEA500C1
	v_mov_b32_e32 v7, 0                                        // 000000005E58: 7E0E0280
	s_mov_b64 exec, s[36:37]                                   // 000000005E5C: BEFE0124
	v_mov_b32_e32 v6, v48                                      // 000000005E60: 7E0C0330
	s_mov_b64 s[60:61], 0                                      // 000000005E64: BEBC0180
	v_readlane_b32 s82, v3, 0                                  // 000000005E68: D2890052 00010103
	s_and_b32 s82, s82, 0xffffff                               // 000000005E70: 8652FF52 00FFFFFF
	s_cmp_lt_u32 s82, s66                                      // 000000005E78: BF0A4252
	s_cselect_b32 s20, s36, s60                                // 000000005E7C: 85143C24
	v_readlane_b32 s82, v3, 1                                  // 000000005E80: D2890052 00010303
	s_and_b32 s82, s82, 0xffffff                               // 000000005E88: 8652FF52 00FFFFFF
	s_cmp_lt_u32 s82, s66                                      // 000000005E90: BF0A4252
	s_cselect_b32 s21, s36, s60                                // 000000005E94: 85153C24
	s_mov_b64 exec, s[20:21]                                   // 000000005E98: BEFE0114
	global_atomic_add_f32 v6, v60, s[8:9]                      // 000000005E9C: DD348000 00083C06
	global_atomic_add_f32 v6, v64, s[8:9] offset:256           // 000000005EA4: DD348100 00084006
	s_mov_b64 exec, s[36:37]                                   // 000000005EAC: BEFE0124
	v_mov_b32_e32 v6, v49                                      // 000000005EB0: 7E0C0331
	s_mov_b64 s[60:61], 0                                      // 000000005EB4: BEBC0180
	v_readlane_b32 s82, v3, 2                                  // 000000005EB8: D2890052 00010503
	s_and_b32 s82, s82, 0xffffff                               // 000000005EC0: 8652FF52 00FFFFFF
	s_cmp_lt_u32 s82, s66                                      // 000000005EC8: BF0A4252
	s_cselect_b32 s20, s36, s60                                // 000000005ECC: 85143C24
	v_readlane_b32 s82, v3, 3                                  // 000000005ED0: D2890052 00010703
	s_and_b32 s82, s82, 0xffffff                               // 000000005ED8: 8652FF52 00FFFFFF
	s_cmp_lt_u32 s82, s66                                      // 000000005EE0: BF0A4252
	s_cselect_b32 s21, s36, s60                                // 000000005EE4: 85153C24
	s_mov_b64 exec, s[20:21]                                   // 000000005EE8: BEFE0114
	global_atomic_add_f32 v6, v61, s[8:9]                      // 000000005EEC: DD348000 00083D06
	global_atomic_add_f32 v6, v65, s[8:9] offset:256           // 000000005EF4: DD348100 00084106
	s_mov_b64 exec, s[36:37]                                   // 000000005EFC: BEFE0124
	v_mov_b32_e32 v6, v50                                      // 000000005F00: 7E0C0332
	s_mov_b64 s[60:61], 0                                      // 000000005F04: BEBC0180
	v_readlane_b32 s82, v3, 4                                  // 000000005F08: D2890052 00010903
	s_and_b32 s82, s82, 0xffffff                               // 000000005F10: 8652FF52 00FFFFFF
	s_cmp_lt_u32 s82, s66                                      // 000000005F18: BF0A4252
	s_cselect_b32 s20, s36, s60                                // 000000005F1C: 85143C24
	v_readlane_b32 s82, v3, 5                                  // 000000005F20: D2890052 00010B03
	s_and_b32 s82, s82, 0xffffff                               // 000000005F28: 8652FF52 00FFFFFF
	s_cmp_lt_u32 s82, s66                                      // 000000005F30: BF0A4252
	s_cselect_b32 s21, s36, s60                                // 000000005F34: 85153C24
	s_mov_b64 exec, s[20:21]                                   // 000000005F38: BEFE0114
	global_atomic_add_f32 v6, v68, s[8:9]                      // 000000005F3C: DD348000 00084406
	global_atomic_add_f32 v6, v72, s[8:9] offset:256           // 000000005F44: DD348100 00084806
	s_mov_b64 exec, s[36:37]                                   // 000000005F4C: BEFE0124
	v_mov_b32_e32 v6, v51                                      // 000000005F50: 7E0C0333
	s_mov_b64 s[60:61], 0                                      // 000000005F54: BEBC0180
	v_readlane_b32 s82, v3, 6                                  // 000000005F58: D2890052 00010D03
	s_and_b32 s82, s82, 0xffffff                               // 000000005F60: 8652FF52 00FFFFFF
	s_cmp_lt_u32 s82, s66                                      // 000000005F68: BF0A4252
	s_cselect_b32 s20, s36, s60                                // 000000005F6C: 85143C24
	v_readlane_b32 s82, v3, 7                                  // 000000005F70: D2890052 00010F03
	s_and_b32 s82, s82, 0xffffff                               // 000000005F78: 8652FF52 00FFFFFF
	s_cmp_lt_u32 s82, s66                                      // 000000005F80: BF0A4252
	s_cselect_b32 s21, s36, s60                                // 000000005F84: 85153C24
	s_mov_b64 exec, s[20:21]                                   // 000000005F88: BEFE0114
	global_atomic_add_f32 v6, v69, s[8:9]                      // 000000005F8C: DD348000 00084506
	global_atomic_add_f32 v6, v73, s[8:9] offset:256           // 000000005F94: DD348100 00084906
	s_mov_b64 exec, s[36:37]                                   // 000000005F9C: BEFE0124
	v_mov_b32_e32 v6, v52                                      // 000000005FA0: 7E0C0334
	s_mov_b64 s[60:61], 0                                      // 000000005FA4: BEBC0180
	v_readlane_b32 s82, v3, 8                                  // 000000005FA8: D2890052 00011103
	s_and_b32 s82, s82, 0xffffff                               // 000000005FB0: 8652FF52 00FFFFFF
	s_cmp_lt_u32 s82, s66                                      // 000000005FB8: BF0A4252
	s_cselect_b32 s20, s36, s60                                // 000000005FBC: 85143C24
	v_readlane_b32 s82, v3, 9                                  // 000000005FC0: D2890052 00011303
	s_and_b32 s82, s82, 0xffffff                               // 000000005FC8: 8652FF52 00FFFFFF
	s_cmp_lt_u32 s82, s66                                      // 000000005FD0: BF0A4252
	s_cselect_b32 s21, s36, s60                                // 000000005FD4: 85153C24
	s_mov_b64 exec, s[20:21]                                   // 000000005FD8: BEFE0114
	global_atomic_add_f32 v6, v76, s[8:9]                      // 000000005FDC: DD348000 00084C06
	global_atomic_add_f32 v6, v80, s[8:9] offset:256           // 000000005FE4: DD348100 00085006
	s_mov_b64 exec, s[36:37]                                   // 000000005FEC: BEFE0124
	v_mov_b32_e32 v6, v53                                      // 000000005FF0: 7E0C0335
	s_mov_b64 s[60:61], 0                                      // 000000005FF4: BEBC0180
	v_readlane_b32 s82, v3, 10                                 // 000000005FF8: D2890052 00011503
	s_and_b32 s82, s82, 0xffffff                               // 000000006000: 8652FF52 00FFFFFF
	s_cmp_lt_u32 s82, s66                                      // 000000006008: BF0A4252
	s_cselect_b32 s20, s36, s60                                // 00000000600C: 85143C24
	v_readlane_b32 s82, v3, 11                                 // 000000006010: D2890052 00011703
	s_and_b32 s82, s82, 0xffffff                               // 000000006018: 8652FF52 00FFFFFF
	s_cmp_lt_u32 s82, s66                                      // 000000006020: BF0A4252
	s_cselect_b32 s21, s36, s60                                // 000000006024: 85153C24
	s_mov_b64 exec, s[20:21]                                   // 000000006028: BEFE0114
	global_atomic_add_f32 v6, v77, s[8:9]                      // 00000000602C: DD348000 00084D06
	global_atomic_add_f32 v6, v81, s[8:9] offset:256           // 000000006034: DD348100 00085106
	s_mov_b64 exec, s[36:37]                                   // 00000000603C: BEFE0124
	v_mov_b32_e32 v6, v54                                      // 000000006040: 7E0C0336
	s_mov_b64 s[60:61], 0                                      // 000000006044: BEBC0180
	v_readlane_b32 s82, v3, 12                                 // 000000006048: D2890052 00011903
	s_and_b32 s82, s82, 0xffffff                               // 000000006050: 8652FF52 00FFFFFF
	s_cmp_lt_u32 s82, s66                                      // 000000006058: BF0A4252
	s_cselect_b32 s20, s36, s60                                // 00000000605C: 85143C24
	v_readlane_b32 s82, v3, 13                                 // 000000006060: D2890052 00011B03
	s_and_b32 s82, s82, 0xffffff                               // 000000006068: 8652FF52 00FFFFFF
	s_cmp_lt_u32 s82, s66                                      // 000000006070: BF0A4252
	s_cselect_b32 s21, s36, s60                                // 000000006074: 85153C24
	s_mov_b64 exec, s[20:21]                                   // 000000006078: BEFE0114
	global_atomic_add_f32 v6, v84, s[8:9]                      // 00000000607C: DD348000 00085406
	global_atomic_add_f32 v6, v88, s[8:9] offset:256           // 000000006084: DD348100 00085806
	s_mov_b64 exec, s[36:37]                                   // 00000000608C: BEFE0124
	v_mov_b32_e32 v6, v55                                      // 000000006090: 7E0C0337
	s_mov_b64 s[60:61], 0                                      // 000000006094: BEBC0180
	v_readlane_b32 s82, v3, 14                                 // 000000006098: D2890052 00011D03
	s_and_b32 s82, s82, 0xffffff                               // 0000000060A0: 8652FF52 00FFFFFF
	s_cmp_lt_u32 s82, s66                                      // 0000000060A8: BF0A4252
	s_cselect_b32 s20, s36, s60                                // 0000000060AC: 85143C24
	v_readlane_b32 s82, v3, 15                                 // 0000000060B0: D2890052 00011F03
	s_and_b32 s82, s82, 0xffffff                               // 0000000060B8: 8652FF52 00FFFFFF
	s_cmp_lt_u32 s82, s66                                      // 0000000060C0: BF0A4252
	s_cselect_b32 s21, s36, s60                                // 0000000060C4: 85153C24
	s_mov_b64 exec, s[20:21]                                   // 0000000060C8: BEFE0114
	global_atomic_add_f32 v6, v85, s[8:9]                      // 0000000060CC: DD348000 00085506
	global_atomic_add_f32 v6, v89, s[8:9] offset:256           // 0000000060D4: DD348100 00085906
	s_mov_b64 exec, s[36:37]                                   // 0000000060DC: BEFE0124
	v_mov_b32_e32 v6, v56                                      // 0000000060E0: 7E0C0338
	s_mov_b64 s[60:61], 0                                      // 0000000060E4: BEBC0180
	v_readlane_b32 s82, v3, 16                                 // 0000000060E8: D2890052 00012103
	s_and_b32 s82, s82, 0xffffff                               // 0000000060F0: 8652FF52 00FFFFFF
	s_cmp_lt_u32 s82, s66                                      // 0000000060F8: BF0A4252
	s_cselect_b32 s20, s36, s60                                // 0000000060FC: 85143C24
	v_readlane_b32 s82, v3, 17                                 // 000000006100: D2890052 00012303
	s_and_b32 s82, s82, 0xffffff                               // 000000006108: 8652FF52 00FFFFFF
	s_cmp_lt_u32 s82, s66                                      // 000000006110: BF0A4252
	s_cselect_b32 s21, s36, s60                                // 000000006114: 85153C24
	s_mov_b64 exec, s[20:21]                                   // 000000006118: BEFE0114
	global_atomic_add_f32 v6, v92, s[8:9]                      // 00000000611C: DD348000 00085C06
	global_atomic_add_f32 v6, v96, s[8:9] offset:256           // 000000006124: DD348100 00086006
	s_mov_b64 exec, s[36:37]                                   // 00000000612C: BEFE0124
	v_mov_b32_e32 v6, v57                                      // 000000006130: 7E0C0339
	s_mov_b64 s[60:61], 0                                      // 000000006134: BEBC0180
	v_readlane_b32 s82, v3, 18                                 // 000000006138: D2890052 00012503
	s_and_b32 s82, s82, 0xffffff                               // 000000006140: 8652FF52 00FFFFFF
	s_cmp_lt_u32 s82, s66                                      // 000000006148: BF0A4252
	s_cselect_b32 s20, s36, s60                                // 00000000614C: 85143C24
	v_readlane_b32 s82, v3, 19                                 // 000000006150: D2890052 00012703
	s_and_b32 s82, s82, 0xffffff                               // 000000006158: 8652FF52 00FFFFFF
	s_cmp_lt_u32 s82, s66                                      // 000000006160: BF0A4252
	s_cselect_b32 s21, s36, s60                                // 000000006164: 85153C24
	s_mov_b64 exec, s[20:21]                                   // 000000006168: BEFE0114
	global_atomic_add_f32 v6, v93, s[8:9]                      // 00000000616C: DD348000 00085D06
	global_atomic_add_f32 v6, v97, s[8:9] offset:256           // 000000006174: DD348100 00086106
	s_mov_b64 exec, s[36:37]                                   // 00000000617C: BEFE0124
	ds_write_b64 v20, v[62:63]                                 // 000000006180: D89A0000 00003E14
	ds_write_b64 v20, v[66:67] offset:4352                     // 000000006188: D89A1100 00004214
	ds_write_b64 v20, v[70:71] offset:8704                     // 000000006190: D89A2200 00004614
	ds_write_b64 v20, v[74:75] offset:13056                    // 000000006198: D89A3300 00004A14
	ds_write_b64 v20, v[78:79] offset:17408                    // 0000000061A0: D89A4400 00004E14
	ds_write_b64 v20, v[82:83] offset:2176                     // 0000000061A8: D89A0880 00005214
	ds_write_b64 v20, v[86:87] offset:6528                     // 0000000061B0: D89A1980 00005614
	ds_write_b64 v20, v[90:91] offset:10880                    // 0000000061B8: D89A2A80 00005A14
	ds_write_b64 v20, v[94:95] offset:15232                    // 0000000061C0: D89A3B80 00005E14
	ds_write_b64 v20, v[98:99] offset:19584                    // 0000000061C8: D89A4C80 00006214
	s_waitcnt lgkmcnt(0)                                       // 0000000061D0: BF8CC07F
	s_barrier                                                  // 0000000061D4: BF8A0000
	ds_read_b32 v62, v21                                       // 0000000061D8: D86C0000 3E000015
	ds_read_b32 v63, v21 offset:64                             // 0000000061E0: D86C0040 3F000015
	ds_read_b32 v66, v21 offset:2176                           // 0000000061E8: D86C0880 42000015
	ds_read_b32 v67, v21 offset:2240                           // 0000000061F0: D86C08C0 43000015
	ds_read_b32 v70, v21 offset:4352                           // 0000000061F8: D86C1100 46000015
	ds_read_b32 v71, v21 offset:4416                           // 000000006200: D86C1140 47000015
	ds_read_b32 v74, v21 offset:6528                           // 000000006208: D86C1980 4A000015
	ds_read_b32 v75, v21 offset:6592                           // 000000006210: D86C19C0 4B000015
	ds_read_b32 v78, v21 offset:8704                           // 000000006218: D86C2200 4E000015
	ds_read_b32 v79, v21 offset:8768                           // 000000006220: D86C2240 4F000015
	ds_read_b32 v82, v21 offset:10880                          // 000000006228: D86C2A80 52000015
	ds_read_b32 v83, v21 offset:10944                          // 000000006230: D86C2AC0 53000015
	ds_read_b32 v86, v21 offset:13056                          // 000000006238: D86C3300 56000015
	ds_read_b32 v87, v21 offset:13120                          // 000000006240: D86C3340 57000015
	ds_read_b32 v90, v21 offset:15232                          // 000000006248: D86C3B80 5A000015
	ds_read_b32 v91, v21 offset:15296                          // 000000006250: D86C3BC0 5B000015
	ds_read_b32 v94, v21 offset:17408                          // 000000006258: D86C4400 5E000015
	ds_read_b32 v95, v21 offset:17472                          // 000000006260: D86C4440 5F000015
	ds_read_b32 v98, v21 offset:19584                          // 000000006268: D86C4C80 62000015
	ds_read_b32 v99, v21 offset:19648                          // 000000006270: D86C4CC0 63000015
	s_waitcnt lgkmcnt(0)                                       // 000000006278: BF8CC07F
	v_mov_b32_e32 v7, 0                                        // 00000000627C: 7E0E0280
	s_mov_b64 exec, s[36:37]                                   // 000000006280: BEFE0124
	v_mov_b32_e32 v6, v48                                      // 000000006284: 7E0C0330
	s_mov_b64 s[60:61], 0                                      // 000000006288: BEBC0180
	v_readlane_b32 s82, v3, 0                                  // 00000000628C: D2890052 00010103
	s_and_b32 s82, s82, 0xffffff                               // 000000006294: 8652FF52 00FFFFFF
	s_cmp_lt_u32 s82, s66                                      // 00000000629C: BF0A4252
	s_cselect_b32 s20, s36, s60                                // 0000000062A0: 85143C24
	v_readlane_b32 s82, v3, 1                                  // 0000000062A4: D2890052 00010303
	s_and_b32 s82, s82, 0xffffff                               // 0000000062AC: 8652FF52 00FFFFFF
	s_cmp_lt_u32 s82, s66                                      // 0000000062B4: BF0A4252
	s_cselect_b32 s21, s36, s60                                // 0000000062B8: 85153C24
	s_mov_b64 exec, s[20:21]                                   // 0000000062BC: BEFE0114
	global_atomic_add_f32 v6, v62, s[8:9] offset:8             // 0000000062C0: DD348008 00083E06
	global_atomic_add_f32 v6, v66, s[8:9] offset:264           // 0000000062C8: DD348108 00084206
	s_mov_b64 exec, s[36:37]                                   // 0000000062D0: BEFE0124
	v_mov_b32_e32 v6, v49                                      // 0000000062D4: 7E0C0331
	s_mov_b64 s[60:61], 0                                      // 0000000062D8: BEBC0180
	v_readlane_b32 s82, v3, 2                                  // 0000000062DC: D2890052 00010503
	s_and_b32 s82, s82, 0xffffff                               // 0000000062E4: 8652FF52 00FFFFFF
	s_cmp_lt_u32 s82, s66                                      // 0000000062EC: BF0A4252
	s_cselect_b32 s20, s36, s60                                // 0000000062F0: 85143C24
	v_readlane_b32 s82, v3, 3                                  // 0000000062F4: D2890052 00010703
	s_and_b32 s82, s82, 0xffffff                               // 0000000062FC: 8652FF52 00FFFFFF
	s_cmp_lt_u32 s82, s66                                      // 000000006304: BF0A4252
	s_cselect_b32 s21, s36, s60                                // 000000006308: 85153C24
	s_mov_b64 exec, s[20:21]                                   // 00000000630C: BEFE0114
	global_atomic_add_f32 v6, v63, s[8:9] offset:8             // 000000006310: DD348008 00083F06
	global_atomic_add_f32 v6, v67, s[8:9] offset:264           // 000000006318: DD348108 00084306
	s_mov_b64 exec, s[36:37]                                   // 000000006320: BEFE0124
	v_mov_b32_e32 v6, v50                                      // 000000006324: 7E0C0332
	s_mov_b64 s[60:61], 0                                      // 000000006328: BEBC0180
	v_readlane_b32 s82, v3, 4                                  // 00000000632C: D2890052 00010903
	s_and_b32 s82, s82, 0xffffff                               // 000000006334: 8652FF52 00FFFFFF
	s_cmp_lt_u32 s82, s66                                      // 00000000633C: BF0A4252
	s_cselect_b32 s20, s36, s60                                // 000000006340: 85143C24
	v_readlane_b32 s82, v3, 5                                  // 000000006344: D2890052 00010B03
	s_and_b32 s82, s82, 0xffffff                               // 00000000634C: 8652FF52 00FFFFFF
	s_cmp_lt_u32 s82, s66                                      // 000000006354: BF0A4252
	s_cselect_b32 s21, s36, s60                                // 000000006358: 85153C24
	s_mov_b64 exec, s[20:21]                                   // 00000000635C: BEFE0114
	global_atomic_add_f32 v6, v70, s[8:9] offset:8             // 000000006360: DD348008 00084606
	global_atomic_add_f32 v6, v74, s[8:9] offset:264           // 000000006368: DD348108 00084A06
	s_mov_b64 exec, s[36:37]                                   // 000000006370: BEFE0124
	v_mov_b32_e32 v6, v51                                      // 000000006374: 7E0C0333
	s_mov_b64 s[60:61], 0                                      // 000000006378: BEBC0180
	v_readlane_b32 s82, v3, 6                                  // 00000000637C: D2890052 00010D03
	s_and_b32 s82, s82, 0xffffff                               // 000000006384: 8652FF52 00FFFFFF
	s_cmp_lt_u32 s82, s66                                      // 00000000638C: BF0A4252
	s_cselect_b32 s20, s36, s60                                // 000000006390: 85143C24
	v_readlane_b32 s82, v3, 7                                  // 000000006394: D2890052 00010F03
	s_and_b32 s82, s82, 0xffffff                               // 00000000639C: 8652FF52 00FFFFFF
	s_cmp_lt_u32 s82, s66                                      // 0000000063A4: BF0A4252
	s_cselect_b32 s21, s36, s60                                // 0000000063A8: 85153C24
	s_mov_b64 exec, s[20:21]                                   // 0000000063AC: BEFE0114
	global_atomic_add_f32 v6, v71, s[8:9] offset:8             // 0000000063B0: DD348008 00084706
	global_atomic_add_f32 v6, v75, s[8:9] offset:264           // 0000000063B8: DD348108 00084B06
	s_mov_b64 exec, s[36:37]                                   // 0000000063C0: BEFE0124
	v_mov_b32_e32 v6, v52                                      // 0000000063C4: 7E0C0334
	s_mov_b64 s[60:61], 0                                      // 0000000063C8: BEBC0180
	v_readlane_b32 s82, v3, 8                                  // 0000000063CC: D2890052 00011103
	s_and_b32 s82, s82, 0xffffff                               // 0000000063D4: 8652FF52 00FFFFFF
	s_cmp_lt_u32 s82, s66                                      // 0000000063DC: BF0A4252
	s_cselect_b32 s20, s36, s60                                // 0000000063E0: 85143C24
	v_readlane_b32 s82, v3, 9                                  // 0000000063E4: D2890052 00011303
	s_and_b32 s82, s82, 0xffffff                               // 0000000063EC: 8652FF52 00FFFFFF
	s_cmp_lt_u32 s82, s66                                      // 0000000063F4: BF0A4252
	s_cselect_b32 s21, s36, s60                                // 0000000063F8: 85153C24
	s_mov_b64 exec, s[20:21]                                   // 0000000063FC: BEFE0114
	global_atomic_add_f32 v6, v78, s[8:9] offset:8             // 000000006400: DD348008 00084E06
	global_atomic_add_f32 v6, v82, s[8:9] offset:264           // 000000006408: DD348108 00085206
	s_mov_b64 exec, s[36:37]                                   // 000000006410: BEFE0124
	v_mov_b32_e32 v6, v53                                      // 000000006414: 7E0C0335
	s_mov_b64 s[60:61], 0                                      // 000000006418: BEBC0180
	v_readlane_b32 s82, v3, 10                                 // 00000000641C: D2890052 00011503
	s_and_b32 s82, s82, 0xffffff                               // 000000006424: 8652FF52 00FFFFFF
	s_cmp_lt_u32 s82, s66                                      // 00000000642C: BF0A4252
	s_cselect_b32 s20, s36, s60                                // 000000006430: 85143C24
	v_readlane_b32 s82, v3, 11                                 // 000000006434: D2890052 00011703
	s_and_b32 s82, s82, 0xffffff                               // 00000000643C: 8652FF52 00FFFFFF
	s_cmp_lt_u32 s82, s66                                      // 000000006444: BF0A4252
	s_cselect_b32 s21, s36, s60                                // 000000006448: 85153C24
	s_mov_b64 exec, s[20:21]                                   // 00000000644C: BEFE0114
	global_atomic_add_f32 v6, v79, s[8:9] offset:8             // 000000006450: DD348008 00084F06
	global_atomic_add_f32 v6, v83, s[8:9] offset:264           // 000000006458: DD348108 00085306
	s_mov_b64 exec, s[36:37]                                   // 000000006460: BEFE0124
	v_mov_b32_e32 v6, v54                                      // 000000006464: 7E0C0336
	s_mov_b64 s[60:61], 0                                      // 000000006468: BEBC0180
	v_readlane_b32 s82, v3, 12                                 // 00000000646C: D2890052 00011903
	s_and_b32 s82, s82, 0xffffff                               // 000000006474: 8652FF52 00FFFFFF
	s_cmp_lt_u32 s82, s66                                      // 00000000647C: BF0A4252
	s_cselect_b32 s20, s36, s60                                // 000000006480: 85143C24
	v_readlane_b32 s82, v3, 13                                 // 000000006484: D2890052 00011B03
	s_and_b32 s82, s82, 0xffffff                               // 00000000648C: 8652FF52 00FFFFFF
	s_cmp_lt_u32 s82, s66                                      // 000000006494: BF0A4252
	s_cselect_b32 s21, s36, s60                                // 000000006498: 85153C24
	s_mov_b64 exec, s[20:21]                                   // 00000000649C: BEFE0114
	global_atomic_add_f32 v6, v86, s[8:9] offset:8             // 0000000064A0: DD348008 00085606
	global_atomic_add_f32 v6, v90, s[8:9] offset:264           // 0000000064A8: DD348108 00085A06
	s_mov_b64 exec, s[36:37]                                   // 0000000064B0: BEFE0124
	v_mov_b32_e32 v6, v55                                      // 0000000064B4: 7E0C0337
	s_mov_b64 s[60:61], 0                                      // 0000000064B8: BEBC0180
	v_readlane_b32 s82, v3, 14                                 // 0000000064BC: D2890052 00011D03
	s_and_b32 s82, s82, 0xffffff                               // 0000000064C4: 8652FF52 00FFFFFF
	s_cmp_lt_u32 s82, s66                                      // 0000000064CC: BF0A4252
	s_cselect_b32 s20, s36, s60                                // 0000000064D0: 85143C24
	v_readlane_b32 s82, v3, 15                                 // 0000000064D4: D2890052 00011F03
	s_and_b32 s82, s82, 0xffffff                               // 0000000064DC: 8652FF52 00FFFFFF
	s_cmp_lt_u32 s82, s66                                      // 0000000064E4: BF0A4252
	s_cselect_b32 s21, s36, s60                                // 0000000064E8: 85153C24
	s_mov_b64 exec, s[20:21]                                   // 0000000064EC: BEFE0114
	global_atomic_add_f32 v6, v87, s[8:9] offset:8             // 0000000064F0: DD348008 00085706
	global_atomic_add_f32 v6, v91, s[8:9] offset:264           // 0000000064F8: DD348108 00085B06
	s_mov_b64 exec, s[36:37]                                   // 000000006500: BEFE0124
	v_mov_b32_e32 v6, v56                                      // 000000006504: 7E0C0338
	s_mov_b64 s[60:61], 0                                      // 000000006508: BEBC0180
	v_readlane_b32 s82, v3, 16                                 // 00000000650C: D2890052 00012103
	s_and_b32 s82, s82, 0xffffff                               // 000000006514: 8652FF52 00FFFFFF
	s_cmp_lt_u32 s82, s66                                      // 00000000651C: BF0A4252
	s_cselect_b32 s20, s36, s60                                // 000000006520: 85143C24
	v_readlane_b32 s82, v3, 17                                 // 000000006524: D2890052 00012303
	s_and_b32 s82, s82, 0xffffff                               // 00000000652C: 8652FF52 00FFFFFF
	s_cmp_lt_u32 s82, s66                                      // 000000006534: BF0A4252
	s_cselect_b32 s21, s36, s60                                // 000000006538: 85153C24
	s_mov_b64 exec, s[20:21]                                   // 00000000653C: BEFE0114
	global_atomic_add_f32 v6, v94, s[8:9] offset:8             // 000000006540: DD348008 00085E06
	global_atomic_add_f32 v6, v98, s[8:9] offset:264           // 000000006548: DD348108 00086206
	s_mov_b64 exec, s[36:37]                                   // 000000006550: BEFE0124
	v_mov_b32_e32 v6, v57                                      // 000000006554: 7E0C0339
	s_mov_b64 s[60:61], 0                                      // 000000006558: BEBC0180
	v_readlane_b32 s82, v3, 18                                 // 00000000655C: D2890052 00012503
	s_and_b32 s82, s82, 0xffffff                               // 000000006564: 8652FF52 00FFFFFF
	s_cmp_lt_u32 s82, s66                                      // 00000000656C: BF0A4252
	s_cselect_b32 s20, s36, s60                                // 000000006570: 85143C24
	v_readlane_b32 s82, v3, 19                                 // 000000006574: D2890052 00012703
	s_and_b32 s82, s82, 0xffffff                               // 00000000657C: 8652FF52 00FFFFFF
	s_cmp_lt_u32 s82, s66                                      // 000000006584: BF0A4252
	s_cselect_b32 s21, s36, s60                                // 000000006588: 85153C24
	s_mov_b64 exec, s[20:21]                                   // 00000000658C: BEFE0114
	global_atomic_add_f32 v6, v95, s[8:9] offset:8             // 000000006590: DD348008 00085F06
	global_atomic_add_f32 v6, v99, s[8:9] offset:264           // 000000006598: DD348108 00086306
	s_mov_b64 exec, s[36:37]                                   // 0000000065A0: BEFE0124
	ds_write_b64 v20, v[100:101]                               // 0000000065A4: D89A0000 00006414
	ds_write_b64 v20, v[104:105] offset:4352                   // 0000000065AC: D89A1100 00006814
	ds_write_b64 v20, v[108:109] offset:8704                   // 0000000065B4: D89A2200 00006C14
	ds_write_b64 v20, v[112:113] offset:13056                  // 0000000065BC: D89A3300 00007014
	ds_write_b64 v20, v[116:117] offset:17408                  // 0000000065C4: D89A4400 00007414
	ds_write_b64 v20, v[120:121] offset:2176                   // 0000000065CC: D89A0880 00007814
	ds_write_b64 v20, v[124:125] offset:6528                   // 0000000065D4: D89A1980 00007C14
	ds_write_b64 v20, v[128:129] offset:10880                  // 0000000065DC: D89A2A80 00008014
	ds_write_b64 v20, v[132:133] offset:15232                  // 0000000065E4: D89A3B80 00008414
	ds_write_b64 v20, v[136:137] offset:19584                  // 0000000065EC: D89A4C80 00008814
	s_waitcnt lgkmcnt(0)                                       // 0000000065F4: BF8CC07F
	s_barrier                                                  // 0000000065F8: BF8A0000
	ds_read_b32 v100, v21                                      // 0000000065FC: D86C0000 64000015
	ds_read_b32 v101, v21 offset:64                            // 000000006604: D86C0040 65000015
	ds_read_b32 v104, v21 offset:2176                          // 00000000660C: D86C0880 68000015
	ds_read_b32 v105, v21 offset:2240                          // 000000006614: D86C08C0 69000015
	ds_read_b32 v108, v21 offset:4352                          // 00000000661C: D86C1100 6C000015
	ds_read_b32 v109, v21 offset:4416                          // 000000006624: D86C1140 6D000015
	ds_read_b32 v112, v21 offset:6528                          // 00000000662C: D86C1980 70000015
	ds_read_b32 v113, v21 offset:6592                          // 000000006634: D86C19C0 71000015
	ds_read_b32 v116, v21 offset:8704                          // 00000000663C: D86C2200 74000015
	ds_read_b32 v117, v21 offset:8768                          // 000000006644: D86C2240 75000015
	ds_read_b32 v120, v21 offset:10880                         // 00000000664C: D86C2A80 78000015
	ds_read_b32 v121, v21 offset:10944                         // 000000006654: D86C2AC0 79000015
	ds_read_b32 v124, v21 offset:13056                         // 00000000665C: D86C3300 7C000015
	ds_read_b32 v125, v21 offset:13120                         // 000000006664: D86C3340 7D000015
	ds_read_b32 v128, v21 offset:15232                         // 00000000666C: D86C3B80 80000015
	ds_read_b32 v129, v21 offset:15296                         // 000000006674: D86C3BC0 81000015
	ds_read_b32 v132, v21 offset:17408                         // 00000000667C: D86C4400 84000015
	ds_read_b32 v133, v21 offset:17472                         // 000000006684: D86C4440 85000015
	ds_read_b32 v136, v21 offset:19584                         // 00000000668C: D86C4C80 88000015
	ds_read_b32 v137, v21 offset:19648                         // 000000006694: D86C4CC0 89000015
	s_mul_i32 s60, s65, 4                                      // 00000000669C: 923C8441
	s_add_u32 s8, s60, s8                                      // 0000000066A0: 8008083C
	s_addc_u32 s9, 0, s9                                       // 0000000066A4: 82090980
	s_waitcnt lgkmcnt(0)                                       // 0000000066A8: BF8CC07F
	v_mov_b32_e32 v7, 0                                        // 0000000066AC: 7E0E0280
	s_mov_b64 exec, s[36:37]                                   // 0000000066B0: BEFE0124
	v_mov_b32_e32 v6, v48                                      // 0000000066B4: 7E0C0330
	s_mov_b64 s[60:61], 0                                      // 0000000066B8: BEBC0180
	v_readlane_b32 s82, v3, 0                                  // 0000000066BC: D2890052 00010103
	s_and_b32 s82, s82, 0xffffff                               // 0000000066C4: 8652FF52 00FFFFFF
	s_cmp_lt_u32 s82, s66                                      // 0000000066CC: BF0A4252
	s_cselect_b32 s20, s36, s60                                // 0000000066D0: 85143C24
	v_readlane_b32 s82, v3, 1                                  // 0000000066D4: D2890052 00010303
	s_and_b32 s82, s82, 0xffffff                               // 0000000066DC: 8652FF52 00FFFFFF
	s_cmp_lt_u32 s82, s66                                      // 0000000066E4: BF0A4252
	s_cselect_b32 s21, s36, s60                                // 0000000066E8: 85153C24
	s_mov_b64 exec, s[20:21]                                   // 0000000066EC: BEFE0114
	global_atomic_add_f32 v6, v100, s[8:9]                     // 0000000066F0: DD348000 00086406
	global_atomic_add_f32 v6, v104, s[8:9] offset:256          // 0000000066F8: DD348100 00086806
	s_mov_b64 exec, s[36:37]                                   // 000000006700: BEFE0124
	v_mov_b32_e32 v6, v49                                      // 000000006704: 7E0C0331
	s_mov_b64 s[60:61], 0                                      // 000000006708: BEBC0180
	v_readlane_b32 s82, v3, 2                                  // 00000000670C: D2890052 00010503
	s_and_b32 s82, s82, 0xffffff                               // 000000006714: 8652FF52 00FFFFFF
	s_cmp_lt_u32 s82, s66                                      // 00000000671C: BF0A4252
	s_cselect_b32 s20, s36, s60                                // 000000006720: 85143C24
	v_readlane_b32 s82, v3, 3                                  // 000000006724: D2890052 00010703
	s_and_b32 s82, s82, 0xffffff                               // 00000000672C: 8652FF52 00FFFFFF
	s_cmp_lt_u32 s82, s66                                      // 000000006734: BF0A4252
	s_cselect_b32 s21, s36, s60                                // 000000006738: 85153C24
	s_mov_b64 exec, s[20:21]                                   // 00000000673C: BEFE0114
	global_atomic_add_f32 v6, v101, s[8:9]                     // 000000006740: DD348000 00086506
	global_atomic_add_f32 v6, v105, s[8:9] offset:256          // 000000006748: DD348100 00086906
	s_mov_b64 exec, s[36:37]                                   // 000000006750: BEFE0124
	v_mov_b32_e32 v6, v50                                      // 000000006754: 7E0C0332
	s_mov_b64 s[60:61], 0                                      // 000000006758: BEBC0180
	v_readlane_b32 s82, v3, 4                                  // 00000000675C: D2890052 00010903
	s_and_b32 s82, s82, 0xffffff                               // 000000006764: 8652FF52 00FFFFFF
	s_cmp_lt_u32 s82, s66                                      // 00000000676C: BF0A4252
	s_cselect_b32 s20, s36, s60                                // 000000006770: 85143C24
	v_readlane_b32 s82, v3, 5                                  // 000000006774: D2890052 00010B03
	s_and_b32 s82, s82, 0xffffff                               // 00000000677C: 8652FF52 00FFFFFF
	s_cmp_lt_u32 s82, s66                                      // 000000006784: BF0A4252
	s_cselect_b32 s21, s36, s60                                // 000000006788: 85153C24
	s_mov_b64 exec, s[20:21]                                   // 00000000678C: BEFE0114
	global_atomic_add_f32 v6, v108, s[8:9]                     // 000000006790: DD348000 00086C06
	global_atomic_add_f32 v6, v112, s[8:9] offset:256          // 000000006798: DD348100 00087006
	s_mov_b64 exec, s[36:37]                                   // 0000000067A0: BEFE0124
	v_mov_b32_e32 v6, v51                                      // 0000000067A4: 7E0C0333
	s_mov_b64 s[60:61], 0                                      // 0000000067A8: BEBC0180
	v_readlane_b32 s82, v3, 6                                  // 0000000067AC: D2890052 00010D03
	s_and_b32 s82, s82, 0xffffff                               // 0000000067B4: 8652FF52 00FFFFFF
	s_cmp_lt_u32 s82, s66                                      // 0000000067BC: BF0A4252
	s_cselect_b32 s20, s36, s60                                // 0000000067C0: 85143C24
	v_readlane_b32 s82, v3, 7                                  // 0000000067C4: D2890052 00010F03
	s_and_b32 s82, s82, 0xffffff                               // 0000000067CC: 8652FF52 00FFFFFF
	s_cmp_lt_u32 s82, s66                                      // 0000000067D4: BF0A4252
	s_cselect_b32 s21, s36, s60                                // 0000000067D8: 85153C24
	s_mov_b64 exec, s[20:21]                                   // 0000000067DC: BEFE0114
	global_atomic_add_f32 v6, v109, s[8:9]                     // 0000000067E0: DD348000 00086D06
	global_atomic_add_f32 v6, v113, s[8:9] offset:256          // 0000000067E8: DD348100 00087106
	s_mov_b64 exec, s[36:37]                                   // 0000000067F0: BEFE0124
	v_mov_b32_e32 v6, v52                                      // 0000000067F4: 7E0C0334
	s_mov_b64 s[60:61], 0                                      // 0000000067F8: BEBC0180
	v_readlane_b32 s82, v3, 8                                  // 0000000067FC: D2890052 00011103
	s_and_b32 s82, s82, 0xffffff                               // 000000006804: 8652FF52 00FFFFFF
	s_cmp_lt_u32 s82, s66                                      // 00000000680C: BF0A4252
	s_cselect_b32 s20, s36, s60                                // 000000006810: 85143C24
	v_readlane_b32 s82, v3, 9                                  // 000000006814: D2890052 00011303
	s_and_b32 s82, s82, 0xffffff                               // 00000000681C: 8652FF52 00FFFFFF
	s_cmp_lt_u32 s82, s66                                      // 000000006824: BF0A4252
	s_cselect_b32 s21, s36, s60                                // 000000006828: 85153C24
	s_mov_b64 exec, s[20:21]                                   // 00000000682C: BEFE0114
	global_atomic_add_f32 v6, v116, s[8:9]                     // 000000006830: DD348000 00087406
	global_atomic_add_f32 v6, v120, s[8:9] offset:256          // 000000006838: DD348100 00087806
	s_mov_b64 exec, s[36:37]                                   // 000000006840: BEFE0124
	v_mov_b32_e32 v6, v53                                      // 000000006844: 7E0C0335
	s_mov_b64 s[60:61], 0                                      // 000000006848: BEBC0180
	v_readlane_b32 s82, v3, 10                                 // 00000000684C: D2890052 00011503
	s_and_b32 s82, s82, 0xffffff                               // 000000006854: 8652FF52 00FFFFFF
	s_cmp_lt_u32 s82, s66                                      // 00000000685C: BF0A4252
	s_cselect_b32 s20, s36, s60                                // 000000006860: 85143C24
	v_readlane_b32 s82, v3, 11                                 // 000000006864: D2890052 00011703
	s_and_b32 s82, s82, 0xffffff                               // 00000000686C: 8652FF52 00FFFFFF
	s_cmp_lt_u32 s82, s66                                      // 000000006874: BF0A4252
	s_cselect_b32 s21, s36, s60                                // 000000006878: 85153C24
	s_mov_b64 exec, s[20:21]                                   // 00000000687C: BEFE0114
	global_atomic_add_f32 v6, v117, s[8:9]                     // 000000006880: DD348000 00087506
	global_atomic_add_f32 v6, v121, s[8:9] offset:256          // 000000006888: DD348100 00087906
	s_mov_b64 exec, s[36:37]                                   // 000000006890: BEFE0124
	v_mov_b32_e32 v6, v54                                      // 000000006894: 7E0C0336
	s_mov_b64 s[60:61], 0                                      // 000000006898: BEBC0180
	v_readlane_b32 s82, v3, 12                                 // 00000000689C: D2890052 00011903
	s_and_b32 s82, s82, 0xffffff                               // 0000000068A4: 8652FF52 00FFFFFF
	s_cmp_lt_u32 s82, s66                                      // 0000000068AC: BF0A4252
	s_cselect_b32 s20, s36, s60                                // 0000000068B0: 85143C24
	v_readlane_b32 s82, v3, 13                                 // 0000000068B4: D2890052 00011B03
	s_and_b32 s82, s82, 0xffffff                               // 0000000068BC: 8652FF52 00FFFFFF
	s_cmp_lt_u32 s82, s66                                      // 0000000068C4: BF0A4252
	s_cselect_b32 s21, s36, s60                                // 0000000068C8: 85153C24
	s_mov_b64 exec, s[20:21]                                   // 0000000068CC: BEFE0114
	global_atomic_add_f32 v6, v124, s[8:9]                     // 0000000068D0: DD348000 00087C06
	global_atomic_add_f32 v6, v128, s[8:9] offset:256          // 0000000068D8: DD348100 00088006
	s_mov_b64 exec, s[36:37]                                   // 0000000068E0: BEFE0124
	v_mov_b32_e32 v6, v55                                      // 0000000068E4: 7E0C0337
	s_mov_b64 s[60:61], 0                                      // 0000000068E8: BEBC0180
	v_readlane_b32 s82, v3, 14                                 // 0000000068EC: D2890052 00011D03
	s_and_b32 s82, s82, 0xffffff                               // 0000000068F4: 8652FF52 00FFFFFF
	s_cmp_lt_u32 s82, s66                                      // 0000000068FC: BF0A4252
	s_cselect_b32 s20, s36, s60                                // 000000006900: 85143C24
	v_readlane_b32 s82, v3, 15                                 // 000000006904: D2890052 00011F03
	s_and_b32 s82, s82, 0xffffff                               // 00000000690C: 8652FF52 00FFFFFF
	s_cmp_lt_u32 s82, s66                                      // 000000006914: BF0A4252
	s_cselect_b32 s21, s36, s60                                // 000000006918: 85153C24
	s_mov_b64 exec, s[20:21]                                   // 00000000691C: BEFE0114
	global_atomic_add_f32 v6, v125, s[8:9]                     // 000000006920: DD348000 00087D06
	global_atomic_add_f32 v6, v129, s[8:9] offset:256          // 000000006928: DD348100 00088106
	s_mov_b64 exec, s[36:37]                                   // 000000006930: BEFE0124
	v_mov_b32_e32 v6, v56                                      // 000000006934: 7E0C0338
	s_mov_b64 s[60:61], 0                                      // 000000006938: BEBC0180
	v_readlane_b32 s82, v3, 16                                 // 00000000693C: D2890052 00012103
	s_and_b32 s82, s82, 0xffffff                               // 000000006944: 8652FF52 00FFFFFF
	s_cmp_lt_u32 s82, s66                                      // 00000000694C: BF0A4252
	s_cselect_b32 s20, s36, s60                                // 000000006950: 85143C24
	v_readlane_b32 s82, v3, 17                                 // 000000006954: D2890052 00012303
	s_and_b32 s82, s82, 0xffffff                               // 00000000695C: 8652FF52 00FFFFFF
	s_cmp_lt_u32 s82, s66                                      // 000000006964: BF0A4252
	s_cselect_b32 s21, s36, s60                                // 000000006968: 85153C24
	s_mov_b64 exec, s[20:21]                                   // 00000000696C: BEFE0114
	global_atomic_add_f32 v6, v132, s[8:9]                     // 000000006970: DD348000 00088406
	global_atomic_add_f32 v6, v136, s[8:9] offset:256          // 000000006978: DD348100 00088806
	s_mov_b64 exec, s[36:37]                                   // 000000006980: BEFE0124
	v_mov_b32_e32 v6, v57                                      // 000000006984: 7E0C0339
	s_mov_b64 s[60:61], 0                                      // 000000006988: BEBC0180
	v_readlane_b32 s82, v3, 18                                 // 00000000698C: D2890052 00012503
	s_and_b32 s82, s82, 0xffffff                               // 000000006994: 8652FF52 00FFFFFF
	s_cmp_lt_u32 s82, s66                                      // 00000000699C: BF0A4252
	s_cselect_b32 s20, s36, s60                                // 0000000069A0: 85143C24
	v_readlane_b32 s82, v3, 19                                 // 0000000069A4: D2890052 00012703
	s_and_b32 s82, s82, 0xffffff                               // 0000000069AC: 8652FF52 00FFFFFF
	s_cmp_lt_u32 s82, s66                                      // 0000000069B4: BF0A4252
	s_cselect_b32 s21, s36, s60                                // 0000000069B8: 85153C24
	s_mov_b64 exec, s[20:21]                                   // 0000000069BC: BEFE0114
	global_atomic_add_f32 v6, v133, s[8:9]                     // 0000000069C0: DD348000 00088506
	global_atomic_add_f32 v6, v137, s[8:9] offset:256          // 0000000069C8: DD348100 00088906
	s_mov_b64 exec, s[36:37]                                   // 0000000069D0: BEFE0124
	ds_write_b64 v20, v[102:103]                               // 0000000069D4: D89A0000 00006614
	ds_write_b64 v20, v[106:107] offset:4352                   // 0000000069DC: D89A1100 00006A14
	ds_write_b64 v20, v[110:111] offset:8704                   // 0000000069E4: D89A2200 00006E14
	ds_write_b64 v20, v[114:115] offset:13056                  // 0000000069EC: D89A3300 00007214
	ds_write_b64 v20, v[118:119] offset:17408                  // 0000000069F4: D89A4400 00007614
	ds_write_b64 v20, v[122:123] offset:2176                   // 0000000069FC: D89A0880 00007A14
	ds_write_b64 v20, v[126:127] offset:6528                   // 000000006A04: D89A1980 00007E14
	ds_write_b64 v20, v[130:131] offset:10880                  // 000000006A0C: D89A2A80 00008214
	ds_write_b64 v20, v[134:135] offset:15232                  // 000000006A14: D89A3B80 00008614
	ds_write_b64 v20, v[138:139] offset:19584                  // 000000006A1C: D89A4C80 00008A14
	s_waitcnt lgkmcnt(0)                                       // 000000006A24: BF8CC07F
	s_barrier                                                  // 000000006A28: BF8A0000
	ds_read_b32 v102, v21                                      // 000000006A2C: D86C0000 66000015
	ds_read_b32 v103, v21 offset:64                            // 000000006A34: D86C0040 67000015
	ds_read_b32 v106, v21 offset:2176                          // 000000006A3C: D86C0880 6A000015
	ds_read_b32 v107, v21 offset:2240                          // 000000006A44: D86C08C0 6B000015
	ds_read_b32 v110, v21 offset:4352                          // 000000006A4C: D86C1100 6E000015
	ds_read_b32 v111, v21 offset:4416                          // 000000006A54: D86C1140 6F000015
	ds_read_b32 v114, v21 offset:6528                          // 000000006A5C: D86C1980 72000015
	ds_read_b32 v115, v21 offset:6592                          // 000000006A64: D86C19C0 73000015
	ds_read_b32 v118, v21 offset:8704                          // 000000006A6C: D86C2200 76000015
	ds_read_b32 v119, v21 offset:8768                          // 000000006A74: D86C2240 77000015
	ds_read_b32 v122, v21 offset:10880                         // 000000006A7C: D86C2A80 7A000015
	ds_read_b32 v123, v21 offset:10944                         // 000000006A84: D86C2AC0 7B000015
	ds_read_b32 v126, v21 offset:13056                         // 000000006A8C: D86C3300 7E000015
	ds_read_b32 v127, v21 offset:13120                         // 000000006A94: D86C3340 7F000015
	ds_read_b32 v130, v21 offset:15232                         // 000000006A9C: D86C3B80 82000015
	ds_read_b32 v131, v21 offset:15296                         // 000000006AA4: D86C3BC0 83000015
	ds_read_b32 v134, v21 offset:17408                         // 000000006AAC: D86C4400 86000015
	ds_read_b32 v135, v21 offset:17472                         // 000000006AB4: D86C4440 87000015
	ds_read_b32 v138, v21 offset:19584                         // 000000006ABC: D86C4C80 8A000015
	ds_read_b32 v139, v21 offset:19648                         // 000000006AC4: D86C4CC0 8B000015
	s_waitcnt lgkmcnt(0)                                       // 000000006ACC: BF8CC07F
	v_mov_b32_e32 v7, 0                                        // 000000006AD0: 7E0E0280
	s_mov_b64 exec, s[36:37]                                   // 000000006AD4: BEFE0124
	v_mov_b32_e32 v6, v48                                      // 000000006AD8: 7E0C0330
	s_mov_b64 s[60:61], 0                                      // 000000006ADC: BEBC0180
	v_readlane_b32 s82, v3, 0                                  // 000000006AE0: D2890052 00010103
	s_and_b32 s82, s82, 0xffffff                               // 000000006AE8: 8652FF52 00FFFFFF
	s_cmp_lt_u32 s82, s66                                      // 000000006AF0: BF0A4252
	s_cselect_b32 s20, s36, s60                                // 000000006AF4: 85143C24
	v_readlane_b32 s82, v3, 1                                  // 000000006AF8: D2890052 00010303
	s_and_b32 s82, s82, 0xffffff                               // 000000006B00: 8652FF52 00FFFFFF
	s_cmp_lt_u32 s82, s66                                      // 000000006B08: BF0A4252
	s_cselect_b32 s21, s36, s60                                // 000000006B0C: 85153C24
	s_mov_b64 exec, s[20:21]                                   // 000000006B10: BEFE0114
	global_atomic_add_f32 v6, v102, s[8:9] offset:8            // 000000006B14: DD348008 00086606
	global_atomic_add_f32 v6, v106, s[8:9] offset:264          // 000000006B1C: DD348108 00086A06
	s_mov_b64 exec, s[36:37]                                   // 000000006B24: BEFE0124
	v_mov_b32_e32 v6, v49                                      // 000000006B28: 7E0C0331
	s_mov_b64 s[60:61], 0                                      // 000000006B2C: BEBC0180
	v_readlane_b32 s82, v3, 2                                  // 000000006B30: D2890052 00010503
	s_and_b32 s82, s82, 0xffffff                               // 000000006B38: 8652FF52 00FFFFFF
	s_cmp_lt_u32 s82, s66                                      // 000000006B40: BF0A4252
	s_cselect_b32 s20, s36, s60                                // 000000006B44: 85143C24
	v_readlane_b32 s82, v3, 3                                  // 000000006B48: D2890052 00010703
	s_and_b32 s82, s82, 0xffffff                               // 000000006B50: 8652FF52 00FFFFFF
	s_cmp_lt_u32 s82, s66                                      // 000000006B58: BF0A4252
	s_cselect_b32 s21, s36, s60                                // 000000006B5C: 85153C24
	s_mov_b64 exec, s[20:21]                                   // 000000006B60: BEFE0114
	global_atomic_add_f32 v6, v103, s[8:9] offset:8            // 000000006B64: DD348008 00086706
	global_atomic_add_f32 v6, v107, s[8:9] offset:264          // 000000006B6C: DD348108 00086B06
	s_mov_b64 exec, s[36:37]                                   // 000000006B74: BEFE0124
	v_mov_b32_e32 v6, v50                                      // 000000006B78: 7E0C0332
	s_mov_b64 s[60:61], 0                                      // 000000006B7C: BEBC0180
	v_readlane_b32 s82, v3, 4                                  // 000000006B80: D2890052 00010903
	s_and_b32 s82, s82, 0xffffff                               // 000000006B88: 8652FF52 00FFFFFF
	s_cmp_lt_u32 s82, s66                                      // 000000006B90: BF0A4252
	s_cselect_b32 s20, s36, s60                                // 000000006B94: 85143C24
	v_readlane_b32 s82, v3, 5                                  // 000000006B98: D2890052 00010B03
	s_and_b32 s82, s82, 0xffffff                               // 000000006BA0: 8652FF52 00FFFFFF
	s_cmp_lt_u32 s82, s66                                      // 000000006BA8: BF0A4252
	s_cselect_b32 s21, s36, s60                                // 000000006BAC: 85153C24
	s_mov_b64 exec, s[20:21]                                   // 000000006BB0: BEFE0114
	global_atomic_add_f32 v6, v110, s[8:9] offset:8            // 000000006BB4: DD348008 00086E06
	global_atomic_add_f32 v6, v114, s[8:9] offset:264          // 000000006BBC: DD348108 00087206
	s_mov_b64 exec, s[36:37]                                   // 000000006BC4: BEFE0124
	v_mov_b32_e32 v6, v51                                      // 000000006BC8: 7E0C0333
	s_mov_b64 s[60:61], 0                                      // 000000006BCC: BEBC0180
	v_readlane_b32 s82, v3, 6                                  // 000000006BD0: D2890052 00010D03
	s_and_b32 s82, s82, 0xffffff                               // 000000006BD8: 8652FF52 00FFFFFF
	s_cmp_lt_u32 s82, s66                                      // 000000006BE0: BF0A4252
	s_cselect_b32 s20, s36, s60                                // 000000006BE4: 85143C24
	v_readlane_b32 s82, v3, 7                                  // 000000006BE8: D2890052 00010F03
	s_and_b32 s82, s82, 0xffffff                               // 000000006BF0: 8652FF52 00FFFFFF
	s_cmp_lt_u32 s82, s66                                      // 000000006BF8: BF0A4252
	s_cselect_b32 s21, s36, s60                                // 000000006BFC: 85153C24
	s_mov_b64 exec, s[20:21]                                   // 000000006C00: BEFE0114
	global_atomic_add_f32 v6, v111, s[8:9] offset:8            // 000000006C04: DD348008 00086F06
	global_atomic_add_f32 v6, v115, s[8:9] offset:264          // 000000006C0C: DD348108 00087306
	s_mov_b64 exec, s[36:37]                                   // 000000006C14: BEFE0124
	v_mov_b32_e32 v6, v52                                      // 000000006C18: 7E0C0334
	s_mov_b64 s[60:61], 0                                      // 000000006C1C: BEBC0180
	v_readlane_b32 s82, v3, 8                                  // 000000006C20: D2890052 00011103
	s_and_b32 s82, s82, 0xffffff                               // 000000006C28: 8652FF52 00FFFFFF
	s_cmp_lt_u32 s82, s66                                      // 000000006C30: BF0A4252
	s_cselect_b32 s20, s36, s60                                // 000000006C34: 85143C24
	v_readlane_b32 s82, v3, 9                                  // 000000006C38: D2890052 00011303
	s_and_b32 s82, s82, 0xffffff                               // 000000006C40: 8652FF52 00FFFFFF
	s_cmp_lt_u32 s82, s66                                      // 000000006C48: BF0A4252
	s_cselect_b32 s21, s36, s60                                // 000000006C4C: 85153C24
	s_mov_b64 exec, s[20:21]                                   // 000000006C50: BEFE0114
	global_atomic_add_f32 v6, v118, s[8:9] offset:8            // 000000006C54: DD348008 00087606
	global_atomic_add_f32 v6, v122, s[8:9] offset:264          // 000000006C5C: DD348108 00087A06
	s_mov_b64 exec, s[36:37]                                   // 000000006C64: BEFE0124
	v_mov_b32_e32 v6, v53                                      // 000000006C68: 7E0C0335
	s_mov_b64 s[60:61], 0                                      // 000000006C6C: BEBC0180
	v_readlane_b32 s82, v3, 10                                 // 000000006C70: D2890052 00011503
	s_and_b32 s82, s82, 0xffffff                               // 000000006C78: 8652FF52 00FFFFFF
	s_cmp_lt_u32 s82, s66                                      // 000000006C80: BF0A4252
	s_cselect_b32 s20, s36, s60                                // 000000006C84: 85143C24
	v_readlane_b32 s82, v3, 11                                 // 000000006C88: D2890052 00011703
	s_and_b32 s82, s82, 0xffffff                               // 000000006C90: 8652FF52 00FFFFFF
	s_cmp_lt_u32 s82, s66                                      // 000000006C98: BF0A4252
	s_cselect_b32 s21, s36, s60                                // 000000006C9C: 85153C24
	s_mov_b64 exec, s[20:21]                                   // 000000006CA0: BEFE0114
	global_atomic_add_f32 v6, v119, s[8:9] offset:8            // 000000006CA4: DD348008 00087706
	global_atomic_add_f32 v6, v123, s[8:9] offset:264          // 000000006CAC: DD348108 00087B06
	s_mov_b64 exec, s[36:37]                                   // 000000006CB4: BEFE0124
	v_mov_b32_e32 v6, v54                                      // 000000006CB8: 7E0C0336
	s_mov_b64 s[60:61], 0                                      // 000000006CBC: BEBC0180
	v_readlane_b32 s82, v3, 12                                 // 000000006CC0: D2890052 00011903
	s_and_b32 s82, s82, 0xffffff                               // 000000006CC8: 8652FF52 00FFFFFF
	s_cmp_lt_u32 s82, s66                                      // 000000006CD0: BF0A4252
	s_cselect_b32 s20, s36, s60                                // 000000006CD4: 85143C24
	v_readlane_b32 s82, v3, 13                                 // 000000006CD8: D2890052 00011B03
	s_and_b32 s82, s82, 0xffffff                               // 000000006CE0: 8652FF52 00FFFFFF
	s_cmp_lt_u32 s82, s66                                      // 000000006CE8: BF0A4252
	s_cselect_b32 s21, s36, s60                                // 000000006CEC: 85153C24
	s_mov_b64 exec, s[20:21]                                   // 000000006CF0: BEFE0114
	global_atomic_add_f32 v6, v126, s[8:9] offset:8            // 000000006CF4: DD348008 00087E06
	global_atomic_add_f32 v6, v130, s[8:9] offset:264          // 000000006CFC: DD348108 00088206
	s_mov_b64 exec, s[36:37]                                   // 000000006D04: BEFE0124
	v_mov_b32_e32 v6, v55                                      // 000000006D08: 7E0C0337
	s_mov_b64 s[60:61], 0                                      // 000000006D0C: BEBC0180
	v_readlane_b32 s82, v3, 14                                 // 000000006D10: D2890052 00011D03
	s_and_b32 s82, s82, 0xffffff                               // 000000006D18: 8652FF52 00FFFFFF
	s_cmp_lt_u32 s82, s66                                      // 000000006D20: BF0A4252
	s_cselect_b32 s20, s36, s60                                // 000000006D24: 85143C24
	v_readlane_b32 s82, v3, 15                                 // 000000006D28: D2890052 00011F03
	s_and_b32 s82, s82, 0xffffff                               // 000000006D30: 8652FF52 00FFFFFF
	s_cmp_lt_u32 s82, s66                                      // 000000006D38: BF0A4252
	s_cselect_b32 s21, s36, s60                                // 000000006D3C: 85153C24
	s_mov_b64 exec, s[20:21]                                   // 000000006D40: BEFE0114
	global_atomic_add_f32 v6, v127, s[8:9] offset:8            // 000000006D44: DD348008 00087F06
	global_atomic_add_f32 v6, v131, s[8:9] offset:264          // 000000006D4C: DD348108 00088306
	s_mov_b64 exec, s[36:37]                                   // 000000006D54: BEFE0124
	v_mov_b32_e32 v6, v56                                      // 000000006D58: 7E0C0338
	s_mov_b64 s[60:61], 0                                      // 000000006D5C: BEBC0180
	v_readlane_b32 s82, v3, 16                                 // 000000006D60: D2890052 00012103
	s_and_b32 s82, s82, 0xffffff                               // 000000006D68: 8652FF52 00FFFFFF
	s_cmp_lt_u32 s82, s66                                      // 000000006D70: BF0A4252
	s_cselect_b32 s20, s36, s60                                // 000000006D74: 85143C24
	v_readlane_b32 s82, v3, 17                                 // 000000006D78: D2890052 00012303
	s_and_b32 s82, s82, 0xffffff                               // 000000006D80: 8652FF52 00FFFFFF
	s_cmp_lt_u32 s82, s66                                      // 000000006D88: BF0A4252
	s_cselect_b32 s21, s36, s60                                // 000000006D8C: 85153C24
	s_mov_b64 exec, s[20:21]                                   // 000000006D90: BEFE0114
	global_atomic_add_f32 v6, v134, s[8:9] offset:8            // 000000006D94: DD348008 00088606
	global_atomic_add_f32 v6, v138, s[8:9] offset:264          // 000000006D9C: DD348108 00088A06
	s_mov_b64 exec, s[36:37]                                   // 000000006DA4: BEFE0124
	v_mov_b32_e32 v6, v57                                      // 000000006DA8: 7E0C0339
	s_mov_b64 s[60:61], 0                                      // 000000006DAC: BEBC0180
	v_readlane_b32 s82, v3, 18                                 // 000000006DB0: D2890052 00012503
	s_and_b32 s82, s82, 0xffffff                               // 000000006DB8: 8652FF52 00FFFFFF
	s_cmp_lt_u32 s82, s66                                      // 000000006DC0: BF0A4252
	s_cselect_b32 s20, s36, s60                                // 000000006DC4: 85143C24
	v_readlane_b32 s82, v3, 19                                 // 000000006DC8: D2890052 00012703
	s_and_b32 s82, s82, 0xffffff                               // 000000006DD0: 8652FF52 00FFFFFF
	s_cmp_lt_u32 s82, s66                                      // 000000006DD8: BF0A4252
	s_cselect_b32 s21, s36, s60                                // 000000006DDC: 85153C24
	s_mov_b64 exec, s[20:21]                                   // 000000006DE0: BEFE0114
	global_atomic_add_f32 v6, v135, s[8:9] offset:8            // 000000006DE4: DD348008 00088706
	global_atomic_add_f32 v6, v139, s[8:9] offset:264          // 000000006DEC: DD348108 00088B06
	s_mov_b64 exec, s[36:37]                                   // 000000006DF4: BEFE0124
	s_branch label_1F56                                        // 000000006DF8: BF820E54

0000000000006dfc <label_1102>:
	s_waitcnt vmcnt(2) lgkmcnt(0)                              // 000000006DFC: BF8C0072
	s_barrier                                                  // 000000006E00: BF8A0000
	v_mfma_i32_16x16x32_i8 v[60:63], a[80:81], a[0:1], v[60:63]// 000000006E04: D3D7003C 1CF20150
	buffer_load_dwordx4 a[96:99], v58, s[84:87], 0 offen       // 000000006E0C: E05C1000 8095603A
	v_mfma_i32_16x16x32_i8 v[60:63], a[82:83], a[2:3], v[60:63]// 000000006E14: D3D7003C 1CF20552
	v_mfma_i32_16x16x32_i8 v[60:63], a[84:85], a[4:5], v[60:63]// 000000006E1C: D3D7003C 1CF20954
	v_mfma_i32_16x16x32_i8 v[60:63], a[86:87], a[6:7], v[60:63]// 000000006E24: D3D7003C 1CF20D56
	v_mfma_i32_16x16x32_i8 v[64:67], a[80:81], a[8:9], v[64:67]// 000000006E2C: D3D70040 1D021150
	buffer_load_dwordx4 a[100:103], v58, s[84:87], 0 offen offset:1024// 000000006E34: E05C1400 8095643A
	v_mfma_i32_16x16x32_i8 v[64:67], a[82:83], a[10:11], v[64:67]// 000000006E3C: D3D70040 1D021552
	v_mfma_i32_16x16x32_i8 v[64:67], a[84:85], a[12:13], v[64:67]// 000000006E44: D3D70040 1D021954
	v_mfma_i32_16x16x32_i8 v[64:67], a[86:87], a[14:15], v[64:67]// 000000006E4C: D3D70040 1D021D56
	v_mfma_i32_16x16x32_i8 v[68:71], a[80:81], a[16:17], v[68:71]// 000000006E54: D3D70044 1D122150
	buffer_load_dwordx4 a[104:107], v59, s[84:87], 0 offen     // 000000006E5C: E05C1000 8095683B
	v_mfma_i32_16x16x32_i8 v[68:71], a[82:83], a[18:19], v[68:71]// 000000006E64: D3D70044 1D122552
	v_mfma_i32_16x16x32_i8 v[68:71], a[84:85], a[20:21], v[68:71]// 000000006E6C: D3D70044 1D122954
	v_mfma_i32_16x16x32_i8 v[68:71], a[86:87], a[22:23], v[68:71]// 000000006E74: D3D70044 1D122D56
	v_mfma_i32_16x16x32_i8 v[72:75], a[80:81], a[24:25], v[72:75]// 000000006E7C: D3D70048 1D223150
	buffer_load_dwordx4 a[108:111], v59, s[84:87], 0 offen offset:1024// 000000006E84: E05C1400 80956C3B
	buffer_load_dword v48, s[20:23], 0 offen lds               // 000000006E8C: E0511000 80050030
	s_add_u32 m0, 0x100, s48                                   // 000000006E94: 807C30FF 00000100
	v_mfma_i32_16x16x32_i8 v[72:75], a[82:83], a[26:27], v[72:75]// 000000006E9C: D3D70048 1D223552
	v_mfma_i32_16x16x32_i8 v[72:75], a[84:85], a[28:29], v[72:75]// 000000006EA4: D3D70048 1D223954
	buffer_load_dword v49, s[20:23], 0 offen lds               // 000000006EAC: E0511000 80050031
	s_add_u32 m0, 0x200, s48                                   // 000000006EB4: 807C30FF 00000200
	v_mfma_i32_16x16x32_i8 v[72:75], a[86:87], a[30:31], v[72:75]// 000000006EBC: D3D70048 1D223D56
	v_mfma_i32_16x16x32_i8 v[76:79], a[80:81], a[32:33], v[76:79]// 000000006EC4: D3D7004C 1D324150
	buffer_load_dword v50, s[20:23], 0 offen lds               // 000000006ECC: E0511000 80050032
	s_add_u32 m0, 0x300, s48                                   // 000000006ED4: 807C30FF 00000300
	v_mfma_i32_16x16x32_i8 v[76:79], a[82:83], a[34:35], v[76:79]// 000000006EDC: D3D7004C 1D324552
	v_mfma_i32_16x16x32_i8 v[76:79], a[84:85], a[36:37], v[76:79]// 000000006EE4: D3D7004C 1D324954
	buffer_load_dword v51, s[20:23], 0 offen lds               // 000000006EEC: E0511000 80050033
	s_add_u32 m0, 0x400, s48                                   // 000000006EF4: 807C30FF 00000400
	v_mfma_i32_16x16x32_i8 v[76:79], a[86:87], a[38:39], v[76:79]// 000000006EFC: D3D7004C 1D324D56
	s_waitcnt vmcnt(8)                                         // 000000006F04: BF8C0F78
	v_mfma_i32_16x16x32_i8 v[80:83], a[88:89], a[0:1], v[80:83]// 000000006F08: D3D70050 1D420158
	buffer_load_dword v52, s[20:23], 0 offen lds               // 000000006F10: E0511000 80050034
	s_add_u32 m0, 0x500, s48                                   // 000000006F18: 807C30FF 00000500
	v_mfma_i32_16x16x32_i8 v[80:83], a[90:91], a[2:3], v[80:83]// 000000006F20: D3D70050 1D42055A
	v_mfma_i32_16x16x32_i8 v[80:83], a[92:93], a[4:5], v[80:83]// 000000006F28: D3D70050 1D42095C
	buffer_load_dword v53, s[20:23], 0 offen lds               // 000000006F30: E0511000 80050035
	s_add_u32 m0, 0x600, s48                                   // 000000006F38: 807C30FF 00000600
	v_mfma_i32_16x16x32_i8 v[80:83], a[94:95], a[6:7], v[80:83]// 000000006F40: D3D70050 1D420D5E
	v_mfma_i32_16x16x32_i8 v[84:87], a[88:89], a[8:9], v[84:87]// 000000006F48: D3D70054 1D521158
	buffer_load_dword v54, s[20:23], 0 offen lds               // 000000006F50: E0511000 80050036
	s_add_u32 m0, 0x700, s48                                   // 000000006F58: 807C30FF 00000700
	v_mfma_i32_16x16x32_i8 v[84:87], a[90:91], a[10:11], v[84:87]// 000000006F60: D3D70054 1D52155A
	v_mfma_i32_16x16x32_i8 v[84:87], a[92:93], a[12:13], v[84:87]// 000000006F68: D3D70054 1D52195C
	buffer_load_dword v55, s[20:23], 0 offen lds               // 000000006F70: E0511000 80050037
	s_add_u32 m0, 0x800, s48                                   // 000000006F78: 807C30FF 00000800
	v_mfma_i32_16x16x32_i8 v[84:87], a[94:95], a[14:15], v[84:87]// 000000006F80: D3D70054 1D521D5E
	v_mfma_i32_16x16x32_i8 v[88:91], a[88:89], a[16:17], v[88:91]// 000000006F88: D3D70058 1D622158
	buffer_load_dword v56, s[20:23], 0 offen lds               // 000000006F90: E0511000 80050038
	s_add_u32 m0, 0x900, s48                                   // 000000006F98: 807C30FF 00000900
	v_mfma_i32_16x16x32_i8 v[88:91], a[90:91], a[18:19], v[88:91]// 000000006FA0: D3D70058 1D62255A
	v_mfma_i32_16x16x32_i8 v[88:91], a[92:93], a[20:21], v[88:91]// 000000006FA8: D3D70058 1D62295C
	buffer_load_dword v57, s[20:23], 0 offen lds               // 000000006FB0: E0511000 80050039
	s_add_u32 m0, 0, s49                                       // 000000006FB8: 807C3180
	v_mfma_i32_16x16x32_i8 v[88:91], a[94:95], a[22:23], v[88:91]// 000000006FBC: D3D70058 1D622D5E
	v_mfma_i32_16x16x32_i8 v[92:95], a[88:89], a[24:25], v[92:95]// 000000006FC4: D3D7005C 1D723158
	v_mfma_i32_16x16x32_i8 v[92:95], a[90:91], a[26:27], v[92:95]// 000000006FCC: D3D7005C 1D72355A
	v_mfma_i32_16x16x32_i8 v[92:95], a[92:93], a[28:29], v[92:95]// 000000006FD4: D3D7005C 1D72395C
	v_mfma_i32_16x16x32_i8 v[92:95], a[94:95], a[30:31], v[92:95]// 000000006FDC: D3D7005C 1D723D5E
	v_mfma_i32_16x16x32_i8 v[96:99], a[88:89], a[32:33], v[96:99]// 000000006FE4: D3D70060 1D824158
	v_mfma_i32_16x16x32_i8 v[96:99], a[90:91], a[34:35], v[96:99]// 000000006FEC: D3D70060 1D82455A
	s_add_u32 s60, 0x80, s80                                   // 000000006FF4: 803C50FF 00000080
	s_cmp_lt_u32 s60, s81                                      // 000000006FFC: BF0A513C
	s_cselect_b32 s83, s83, 0                                  // 000000007000: 85538053
	v_mfma_i32_16x16x32_i8 v[96:99], a[92:93], a[36:37], v[96:99]// 000000007004: D3D70060 1D82495C
	v_mfma_i32_16x16x32_i8 v[96:99], a[94:95], a[38:39], v[96:99]// 00000000700C: D3D70060 1D824D5E
	s_waitcnt vmcnt(10)                                        // 000000007014: BF8C0F7A
	v_mfma_i32_16x16x32_i8 v[100:103], a[96:97], a[0:1], v[100:103]// 000000007018: D3D70064 1D920160
	buffer_load_dwordx4 a[80:83], v58, s[24:27], 0 offen       // 000000007020: E05C1000 8086503A
	v_mfma_i32_16x16x32_i8 v[100:103], a[98:99], a[2:3], v[100:103]// 000000007028: D3D70064 1D920562
	v_mfma_i32_16x16x32_i8 v[100:103], a[100:101], a[4:5], v[100:103]// 000000007030: D3D70064 1D920964
	ds_read_b128 a[40:43], v2 offset:10368                     // 000000007038: DBFE2880 28000002
	ds_read_b128 a[44:47], v2 offset:10432                     // 000000007040: DBFE28C0 2C000002
	v_mfma_i32_16x16x32_i8 v[100:103], a[102:103], a[6:7], v[100:103]// 000000007048: D3D70064 1D920D66
	v_mfma_i32_16x16x32_i8 v[120:123], a[104:105], a[0:1], v[120:123]// 000000007050: D3D70078 1DE20168
	buffer_load_dwordx4 a[84:87], v58, s[24:27], 0 offen offset:1024// 000000007058: E05C1400 8086543A
	v_mfma_i32_16x16x32_i8 v[120:123], a[106:107], a[2:3], v[120:123]// 000000007060: D3D70078 1DE2056A
	v_mfma_i32_16x16x32_i8 v[120:123], a[108:109], a[4:5], v[120:123]// 000000007068: D3D70078 1DE2096C
	ds_read_b128 a[48:51], v2 offset:10880                     // 000000007070: DBFE2A80 30000002
	ds_read_b128 a[52:55], v2 offset:10944                     // 000000007078: DBFE2AC0 34000002
	v_mfma_i32_16x16x32_i8 v[120:123], a[110:111], a[6:7], v[120:123]// 000000007080: D3D70078 1DE20D6E
	v_mfma_i32_16x16x32_i8 v[104:107], a[96:97], a[8:9], v[104:107]// 000000007088: D3D70068 1DA21160
	buffer_load_dwordx4 a[88:91], v59, s[24:27], 0 offen       // 000000007090: E05C1000 8086583B
	v_mfma_i32_16x16x32_i8 v[104:107], a[98:99], a[10:11], v[104:107]// 000000007098: D3D70068 1DA21562
	v_mfma_i32_16x16x32_i8 v[104:107], a[100:101], a[12:13], v[104:107]// 0000000070A0: D3D70068 1DA21964
	ds_read_b128 a[56:59], v2 offset:11392                     // 0000000070A8: DBFE2C80 38000002
	ds_read_b128 a[60:63], v2 offset:11456                     // 0000000070B0: DBFE2CC0 3C000002
	v_mfma_i32_16x16x32_i8 v[104:107], a[102:103], a[14:15], v[104:107]// 0000000070B8: D3D70068 1DA21D66
	v_mfma_i32_16x16x32_i8 v[124:127], a[104:105], a[8:9], v[124:127]// 0000000070C0: D3D7007C 1DF21168
	buffer_load_dwordx4 a[92:95], v59, s[24:27], 0 offen offset:1024// 0000000070C8: E05C1400 80865C3B
	v_mfma_i32_16x16x32_i8 v[124:127], a[106:107], a[10:11], v[124:127]// 0000000070D0: D3D7007C 1DF2156A
	v_mfma_i32_16x16x32_i8 v[124:127], a[108:109], a[12:13], v[124:127]// 0000000070D8: D3D7007C 1DF2196C
	ds_read_b128 a[64:67], v2 offset:11904                     // 0000000070E0: DBFE2E80 40000002
	ds_read_b128 a[68:71], v2 offset:11968                     // 0000000070E8: DBFE2EC0 44000002
	v_mfma_i32_16x16x32_i8 v[124:127], a[110:111], a[14:15], v[124:127]// 0000000070F0: D3D7007C 1DF21D6E
	v_mfma_i32_16x16x32_i8 v[108:111], a[96:97], a[16:17], v[108:111]// 0000000070F8: D3D7006C 1DB22160
	v_mfma_i32_16x16x32_i8 v[108:111], a[98:99], a[18:19], v[108:111]// 000000007100: D3D7006C 1DB22562
	v_mfma_i32_16x16x32_i8 v[108:111], a[100:101], a[20:21], v[108:111]// 000000007108: D3D7006C 1DB22964
	ds_read_b128 a[72:75], v2 offset:12416                     // 000000007110: DBFE3080 48000002
	ds_read_b128 a[76:79], v2 offset:12480                     // 000000007118: DBFE30C0 4C000002
	v_mfma_i32_16x16x32_i8 v[108:111], a[102:103], a[22:23], v[108:111]// 000000007120: D3D7006C 1DB22D66
	v_mfma_i32_16x16x32_i8 v[128:131], a[104:105], a[16:17], v[128:131]// 000000007128: D3D70080 1E022168
	v_mfma_i32_16x16x32_i8 v[128:131], a[106:107], a[18:19], v[128:131]// 000000007130: D3D70080 1E02256A
	v_mfma_i32_16x16x32_i8 v[128:131], a[108:109], a[20:21], v[128:131]// 000000007138: D3D70080 1E02296C
	v_mfma_i32_16x16x32_i8 v[128:131], a[110:111], a[22:23], v[128:131]// 000000007140: D3D70080 1E022D6E
	v_mfma_i32_16x16x32_i8 v[112:115], a[96:97], a[24:25], v[112:115]// 000000007148: D3D70070 1DC23160
	v_mfma_i32_16x16x32_i8 v[112:115], a[98:99], a[26:27], v[112:115]// 000000007150: D3D70070 1DC23562
	v_mfma_i32_16x16x32_i8 v[112:115], a[100:101], a[28:29], v[112:115]// 000000007158: D3D70070 1DC23964
	v_mfma_i32_16x16x32_i8 v[112:115], a[102:103], a[30:31], v[112:115]// 000000007160: D3D70070 1DC23D66
	v_mfma_i32_16x16x32_i8 v[132:135], a[104:105], a[24:25], v[132:135]// 000000007168: D3D70084 1E123168
	v_mfma_i32_16x16x32_i8 v[132:135], a[106:107], a[26:27], v[132:135]// 000000007170: D3D70084 1E12356A
	v_mfma_i32_16x16x32_i8 v[132:135], a[108:109], a[28:29], v[132:135]// 000000007178: D3D70084 1E12396C
	v_mfma_i32_16x16x32_i8 v[132:135], a[110:111], a[30:31], v[132:135]// 000000007180: D3D70084 1E123D6E
	v_mfma_i32_16x16x32_i8 v[116:119], a[96:97], a[32:33], v[116:119]// 000000007188: D3D70074 1DD24160
	v_mfma_i32_16x16x32_i8 v[116:119], a[98:99], a[34:35], v[116:119]// 000000007190: D3D70074 1DD24562
	v_mfma_i32_16x16x32_i8 v[116:119], a[100:101], a[36:37], v[116:119]// 000000007198: D3D70074 1DD24964
	s_add_u32 s60, 0x180, s80                                  // 0000000071A0: 803C50FF 00000180
	s_cmp_lt_u32 s60, s81                                      // 0000000071A8: BF0A513C
	s_cselect_b32 s57, s57, 0                                  // 0000000071AC: 85398039
	v_mfma_i32_16x16x32_i8 v[116:119], a[102:103], a[38:39], v[116:119]// 0000000071B0: D3D70074 1DD24D66
	s_add_u32 s60, 0x100, s80                                  // 0000000071B8: 803C50FF 00000100
	s_cmp_lt_u32 s60, s81                                      // 0000000071C0: BF0A513C
	s_cselect_b32 s58, s58, 0                                  // 0000000071C4: 853A803A
	v_mfma_i32_16x16x32_i8 v[136:139], a[104:105], a[32:33], v[136:139]// 0000000071C8: D3D70088 1E224168
	s_add_u32 s24, s58, s24                                    // 0000000071D0: 8018183A
	s_addc_u32 s25, 0, s25                                     // 0000000071D4: 82191980
	v_mfma_i32_16x16x32_i8 v[136:139], a[106:107], a[34:35], v[136:139]// 0000000071D8: D3D70088 1E22456A
	s_add_u32 s20, s57, s20                                    // 0000000071E0: 80141439
	s_addc_u32 s21, 0, s21                                     // 0000000071E4: 82151580
	v_mfma_i32_16x16x32_i8 v[136:139], a[108:109], a[36:37], v[136:139]// 0000000071E8: D3D70088 1E22496C
	s_add_u32 s84, s83, s84                                    // 0000000071F0: 80545453
	s_addc_u32 s85, 0, s85                                     // 0000000071F4: 82555580
	v_mfma_i32_16x16x32_i8 v[136:139], a[110:111], a[38:39], v[136:139]// 0000000071F8: D3D70088 1E224D6E
	s_addk_i32 s80, 0x80                                       // 000000007200: B7500080
	s_cmp_lt_i32 s80, s81                                      // 000000007204: BF045150
	s_cbranch_scc0 label_130B                                  // 000000007208: BF840105
	s_waitcnt vmcnt(2) lgkmcnt(0)                              // 00000000720C: BF8C0072
	s_barrier                                                  // 000000007210: BF8A0000
	v_mfma_i32_16x16x32_i8 v[60:63], a[80:81], a[40:41], v[60:63]// 000000007214: D3D7003C 1CF25150
	buffer_load_dwordx4 a[96:99], v58, s[84:87], 0 offen       // 00000000721C: E05C1000 8095603A
	v_mfma_i32_16x16x32_i8 v[60:63], a[82:83], a[42:43], v[60:63]// 000000007224: D3D7003C 1CF25552
	v_mfma_i32_16x16x32_i8 v[60:63], a[84:85], a[44:45], v[60:63]// 00000000722C: D3D7003C 1CF25954
	v_mfma_i32_16x16x32_i8 v[60:63], a[86:87], a[46:47], v[60:63]// 000000007234: D3D7003C 1CF25D56
	v_mfma_i32_16x16x32_i8 v[64:67], a[80:81], a[48:49], v[64:67]// 00000000723C: D3D70040 1D026150
	buffer_load_dwordx4 a[100:103], v58, s[84:87], 0 offen offset:1024// 000000007244: E05C1400 8095643A
	v_mfma_i32_16x16x32_i8 v[64:67], a[82:83], a[50:51], v[64:67]// 00000000724C: D3D70040 1D026552
	v_mfma_i32_16x16x32_i8 v[64:67], a[84:85], a[52:53], v[64:67]// 000000007254: D3D70040 1D026954
	v_mfma_i32_16x16x32_i8 v[64:67], a[86:87], a[54:55], v[64:67]// 00000000725C: D3D70040 1D026D56
	v_mfma_i32_16x16x32_i8 v[68:71], a[80:81], a[56:57], v[68:71]// 000000007264: D3D70044 1D127150
	buffer_load_dwordx4 a[104:107], v59, s[84:87], 0 offen     // 00000000726C: E05C1000 8095683B
	v_mfma_i32_16x16x32_i8 v[68:71], a[82:83], a[58:59], v[68:71]// 000000007274: D3D70044 1D127552
	v_mfma_i32_16x16x32_i8 v[68:71], a[84:85], a[60:61], v[68:71]// 00000000727C: D3D70044 1D127954
	v_mfma_i32_16x16x32_i8 v[68:71], a[86:87], a[62:63], v[68:71]// 000000007284: D3D70044 1D127D56
	v_mfma_i32_16x16x32_i8 v[72:75], a[80:81], a[64:65], v[72:75]// 00000000728C: D3D70048 1D228150
	buffer_load_dwordx4 a[108:111], v59, s[84:87], 0 offen offset:1024// 000000007294: E05C1400 80956C3B
	buffer_load_dword v48, s[20:23], 0 offen lds               // 00000000729C: E0511000 80050030
	s_add_u32 m0, 0x100, s49                                   // 0000000072A4: 807C31FF 00000100
	v_mfma_i32_16x16x32_i8 v[72:75], a[82:83], a[66:67], v[72:75]// 0000000072AC: D3D70048 1D228552
	v_mfma_i32_16x16x32_i8 v[72:75], a[84:85], a[68:69], v[72:75]// 0000000072B4: D3D70048 1D228954
	buffer_load_dword v49, s[20:23], 0 offen lds               // 0000000072BC: E0511000 80050031
	s_add_u32 m0, 0x200, s49                                   // 0000000072C4: 807C31FF 00000200
	v_mfma_i32_16x16x32_i8 v[72:75], a[86:87], a[70:71], v[72:75]// 0000000072CC: D3D70048 1D228D56
	v_mfma_i32_16x16x32_i8 v[76:79], a[80:81], a[72:73], v[76:79]// 0000000072D4: D3D7004C 1D329150
	buffer_load_dword v50, s[20:23], 0 offen lds               // 0000000072DC: E0511000 80050032
	s_add_u32 m0, 0x300, s49                                   // 0000000072E4: 807C31FF 00000300
	v_mfma_i32_16x16x32_i8 v[76:79], a[82:83], a[74:75], v[76:79]// 0000000072EC: D3D7004C 1D329552
	v_mfma_i32_16x16x32_i8 v[76:79], a[84:85], a[76:77], v[76:79]// 0000000072F4: D3D7004C 1D329954
	buffer_load_dword v51, s[20:23], 0 offen lds               // 0000000072FC: E0511000 80050033
	s_add_u32 m0, 0x400, s49                                   // 000000007304: 807C31FF 00000400
	v_mfma_i32_16x16x32_i8 v[76:79], a[86:87], a[78:79], v[76:79]// 00000000730C: D3D7004C 1D329D56
	s_waitcnt vmcnt(8)                                         // 000000007314: BF8C0F78
	v_mfma_i32_16x16x32_i8 v[80:83], a[88:89], a[40:41], v[80:83]// 000000007318: D3D70050 1D425158
	buffer_load_dword v52, s[20:23], 0 offen lds               // 000000007320: E0511000 80050034
	s_add_u32 m0, 0x500, s49                                   // 000000007328: 807C31FF 00000500
	v_mfma_i32_16x16x32_i8 v[80:83], a[90:91], a[42:43], v[80:83]// 000000007330: D3D70050 1D42555A
	v_mfma_i32_16x16x32_i8 v[80:83], a[92:93], a[44:45], v[80:83]// 000000007338: D3D70050 1D42595C
	buffer_load_dword v53, s[20:23], 0 offen lds               // 000000007340: E0511000 80050035
	s_add_u32 m0, 0x600, s49                                   // 000000007348: 807C31FF 00000600
	v_mfma_i32_16x16x32_i8 v[80:83], a[94:95], a[46:47], v[80:83]// 000000007350: D3D70050 1D425D5E
	v_mfma_i32_16x16x32_i8 v[84:87], a[88:89], a[48:49], v[84:87]// 000000007358: D3D70054 1D526158
	buffer_load_dword v54, s[20:23], 0 offen lds               // 000000007360: E0511000 80050036
	s_add_u32 m0, 0x700, s49                                   // 000000007368: 807C31FF 00000700
	v_mfma_i32_16x16x32_i8 v[84:87], a[90:91], a[50:51], v[84:87]// 000000007370: D3D70054 1D52655A
	v_mfma_i32_16x16x32_i8 v[84:87], a[92:93], a[52:53], v[84:87]// 000000007378: D3D70054 1D52695C
	buffer_load_dword v55, s[20:23], 0 offen lds               // 000000007380: E0511000 80050037
	s_add_u32 m0, 0x800, s49                                   // 000000007388: 807C31FF 00000800
	v_mfma_i32_16x16x32_i8 v[84:87], a[94:95], a[54:55], v[84:87]// 000000007390: D3D70054 1D526D5E
	v_mfma_i32_16x16x32_i8 v[88:91], a[88:89], a[56:57], v[88:91]// 000000007398: D3D70058 1D627158
	buffer_load_dword v56, s[20:23], 0 offen lds               // 0000000073A0: E0511000 80050038
	s_add_u32 m0, 0x900, s49                                   // 0000000073A8: 807C31FF 00000900
	v_mfma_i32_16x16x32_i8 v[88:91], a[90:91], a[58:59], v[88:91]// 0000000073B0: D3D70058 1D62755A
	v_mfma_i32_16x16x32_i8 v[88:91], a[92:93], a[60:61], v[88:91]// 0000000073B8: D3D70058 1D62795C
	buffer_load_dword v57, s[20:23], 0 offen lds               // 0000000073C0: E0511000 80050039
	s_add_u32 m0, 0, s48                                       // 0000000073C8: 807C3080
	v_mfma_i32_16x16x32_i8 v[88:91], a[94:95], a[62:63], v[88:91]// 0000000073CC: D3D70058 1D627D5E
	v_mfma_i32_16x16x32_i8 v[92:95], a[88:89], a[64:65], v[92:95]// 0000000073D4: D3D7005C 1D728158
	v_mfma_i32_16x16x32_i8 v[92:95], a[90:91], a[66:67], v[92:95]// 0000000073DC: D3D7005C 1D72855A
	v_mfma_i32_16x16x32_i8 v[92:95], a[92:93], a[68:69], v[92:95]// 0000000073E4: D3D7005C 1D72895C
	v_mfma_i32_16x16x32_i8 v[92:95], a[94:95], a[70:71], v[92:95]// 0000000073EC: D3D7005C 1D728D5E
	v_mfma_i32_16x16x32_i8 v[96:99], a[88:89], a[72:73], v[96:99]// 0000000073F4: D3D70060 1D829158
	v_mfma_i32_16x16x32_i8 v[96:99], a[90:91], a[74:75], v[96:99]// 0000000073FC: D3D70060 1D82955A
	s_add_u32 s60, 0x80, s80                                   // 000000007404: 803C50FF 00000080
	s_cmp_lt_u32 s60, s81                                      // 00000000740C: BF0A513C
	s_cselect_b32 s83, s83, 0                                  // 000000007410: 85538053
	v_mfma_i32_16x16x32_i8 v[96:99], a[92:93], a[76:77], v[96:99]// 000000007414: D3D70060 1D82995C
	v_mfma_i32_16x16x32_i8 v[96:99], a[94:95], a[78:79], v[96:99]// 00000000741C: D3D70060 1D829D5E
	s_waitcnt vmcnt(10)                                        // 000000007424: BF8C0F7A
	v_mfma_i32_16x16x32_i8 v[100:103], a[96:97], a[40:41], v[100:103]// 000000007428: D3D70064 1D925160
	buffer_load_dwordx4 a[80:83], v58, s[24:27], 0 offen       // 000000007430: E05C1000 8086503A
	v_mfma_i32_16x16x32_i8 v[100:103], a[98:99], a[42:43], v[100:103]// 000000007438: D3D70064 1D925562
	v_mfma_i32_16x16x32_i8 v[100:103], a[100:101], a[44:45], v[100:103]// 000000007440: D3D70064 1D925964
	ds_read_b128 a[0:3], v2                                    // 000000007448: DBFE0000 00000002
	ds_read_b128 a[4:7], v2 offset:64                          // 000000007450: DBFE0040 04000002
	v_mfma_i32_16x16x32_i8 v[100:103], a[102:103], a[46:47], v[100:103]// 000000007458: D3D70064 1D925D66
	v_mfma_i32_16x16x32_i8 v[120:123], a[104:105], a[40:41], v[120:123]// 000000007460: D3D70078 1DE25168
	buffer_load_dwordx4 a[84:87], v58, s[24:27], 0 offen offset:1024// 000000007468: E05C1400 8086543A
	v_mfma_i32_16x16x32_i8 v[120:123], a[106:107], a[42:43], v[120:123]// 000000007470: D3D70078 1DE2556A
	v_mfma_i32_16x16x32_i8 v[120:123], a[108:109], a[44:45], v[120:123]// 000000007478: D3D70078 1DE2596C
	ds_read_b128 a[8:11], v2 offset:512                        // 000000007480: DBFE0200 08000002
	ds_read_b128 a[12:15], v2 offset:576                       // 000000007488: DBFE0240 0C000002
	v_mfma_i32_16x16x32_i8 v[120:123], a[110:111], a[46:47], v[120:123]// 000000007490: D3D70078 1DE25D6E
	v_mfma_i32_16x16x32_i8 v[104:107], a[96:97], a[48:49], v[104:107]// 000000007498: D3D70068 1DA26160
	buffer_load_dwordx4 a[88:91], v59, s[24:27], 0 offen       // 0000000074A0: E05C1000 8086583B
	v_mfma_i32_16x16x32_i8 v[104:107], a[98:99], a[50:51], v[104:107]// 0000000074A8: D3D70068 1DA26562
	v_mfma_i32_16x16x32_i8 v[104:107], a[100:101], a[52:53], v[104:107]// 0000000074B0: D3D70068 1DA26964
	ds_read_b128 a[16:19], v2 offset:1024                      // 0000000074B8: DBFE0400 10000002
	ds_read_b128 a[20:23], v2 offset:1088                      // 0000000074C0: DBFE0440 14000002
	v_mfma_i32_16x16x32_i8 v[104:107], a[102:103], a[54:55], v[104:107]// 0000000074C8: D3D70068 1DA26D66
	v_mfma_i32_16x16x32_i8 v[124:127], a[104:105], a[48:49], v[124:127]// 0000000074D0: D3D7007C 1DF26168
	buffer_load_dwordx4 a[92:95], v59, s[24:27], 0 offen offset:1024// 0000000074D8: E05C1400 80865C3B
	v_mfma_i32_16x16x32_i8 v[124:127], a[106:107], a[50:51], v[124:127]// 0000000074E0: D3D7007C 1DF2656A
	v_mfma_i32_16x16x32_i8 v[124:127], a[108:109], a[52:53], v[124:127]// 0000000074E8: D3D7007C 1DF2696C
	ds_read_b128 a[24:27], v2 offset:1536                      // 0000000074F0: DBFE0600 18000002
	ds_read_b128 a[28:31], v2 offset:1600                      // 0000000074F8: DBFE0640 1C000002
	v_mfma_i32_16x16x32_i8 v[124:127], a[110:111], a[54:55], v[124:127]// 000000007500: D3D7007C 1DF26D6E
	v_mfma_i32_16x16x32_i8 v[108:111], a[96:97], a[56:57], v[108:111]// 000000007508: D3D7006C 1DB27160
	v_mfma_i32_16x16x32_i8 v[108:111], a[98:99], a[58:59], v[108:111]// 000000007510: D3D7006C 1DB27562
	v_mfma_i32_16x16x32_i8 v[108:111], a[100:101], a[60:61], v[108:111]// 000000007518: D3D7006C 1DB27964
	ds_read_b128 a[32:35], v2 offset:2048                      // 000000007520: DBFE0800 20000002
	ds_read_b128 a[36:39], v2 offset:2112                      // 000000007528: DBFE0840 24000002
	v_mfma_i32_16x16x32_i8 v[108:111], a[102:103], a[62:63], v[108:111]// 000000007530: D3D7006C 1DB27D66
	v_mfma_i32_16x16x32_i8 v[128:131], a[104:105], a[56:57], v[128:131]// 000000007538: D3D70080 1E027168
	v_mfma_i32_16x16x32_i8 v[128:131], a[106:107], a[58:59], v[128:131]// 000000007540: D3D70080 1E02756A
	v_mfma_i32_16x16x32_i8 v[128:131], a[108:109], a[60:61], v[128:131]// 000000007548: D3D70080 1E02796C
	v_mfma_i32_16x16x32_i8 v[128:131], a[110:111], a[62:63], v[128:131]// 000000007550: D3D70080 1E027D6E
	v_mfma_i32_16x16x32_i8 v[112:115], a[96:97], a[64:65], v[112:115]// 000000007558: D3D70070 1DC28160
	v_mfma_i32_16x16x32_i8 v[112:115], a[98:99], a[66:67], v[112:115]// 000000007560: D3D70070 1DC28562
	v_mfma_i32_16x16x32_i8 v[112:115], a[100:101], a[68:69], v[112:115]// 000000007568: D3D70070 1DC28964
	v_mfma_i32_16x16x32_i8 v[112:115], a[102:103], a[70:71], v[112:115]// 000000007570: D3D70070 1DC28D66
	v_mfma_i32_16x16x32_i8 v[132:135], a[104:105], a[64:65], v[132:135]// 000000007578: D3D70084 1E128168
	v_mfma_i32_16x16x32_i8 v[132:135], a[106:107], a[66:67], v[132:135]// 000000007580: D3D70084 1E12856A
	v_mfma_i32_16x16x32_i8 v[132:135], a[108:109], a[68:69], v[132:135]// 000000007588: D3D70084 1E12896C
	v_mfma_i32_16x16x32_i8 v[132:135], a[110:111], a[70:71], v[132:135]// 000000007590: D3D70084 1E128D6E
	v_mfma_i32_16x16x32_i8 v[116:119], a[96:97], a[72:73], v[116:119]// 000000007598: D3D70074 1DD29160
	v_mfma_i32_16x16x32_i8 v[116:119], a[98:99], a[74:75], v[116:119]// 0000000075A0: D3D70074 1DD29562
	v_mfma_i32_16x16x32_i8 v[116:119], a[100:101], a[76:77], v[116:119]// 0000000075A8: D3D70074 1DD29964
	s_add_u32 s60, 0x180, s80                                  // 0000000075B0: 803C50FF 00000180
	s_cmp_lt_u32 s60, s81                                      // 0000000075B8: BF0A513C
	s_cselect_b32 s57, s57, 0                                  // 0000000075BC: 85398039
	v_mfma_i32_16x16x32_i8 v[116:119], a[102:103], a[78:79], v[116:119]// 0000000075C0: D3D70074 1DD29D66
	s_add_u32 s60, 0x100, s80                                  // 0000000075C8: 803C50FF 00000100
	s_cmp_lt_u32 s60, s81                                      // 0000000075D0: BF0A513C
	s_cselect_b32 s58, s58, 0                                  // 0000000075D4: 853A803A
	v_mfma_i32_16x16x32_i8 v[136:139], a[104:105], a[72:73], v[136:139]// 0000000075D8: D3D70088 1E229168
	s_add_u32 s24, s58, s24                                    // 0000000075E0: 8018183A
	s_addc_u32 s25, 0, s25                                     // 0000000075E4: 82191980
	v_mfma_i32_16x16x32_i8 v[136:139], a[106:107], a[74:75], v[136:139]// 0000000075E8: D3D70088 1E22956A
	s_add_u32 s20, s57, s20                                    // 0000000075F0: 80141439
	s_addc_u32 s21, 0, s21                                     // 0000000075F4: 82151580
	v_mfma_i32_16x16x32_i8 v[136:139], a[108:109], a[76:77], v[136:139]// 0000000075F8: D3D70088 1E22996C
	s_add_u32 s84, s83, s84                                    // 000000007600: 80545453
	s_addc_u32 s85, 0, s85                                     // 000000007604: 82555580
	v_mfma_i32_16x16x32_i8 v[136:139], a[110:111], a[78:79], v[136:139]// 000000007608: D3D70088 1E229D6E
	s_addk_i32 s80, 0x80                                       // 000000007610: B7500080
	s_cmp_lt_i32 s80, s81                                      // 000000007614: BF045150
	s_cbranch_scc0 label_130B                                  // 000000007618: BF840001
	s_branch label_1102                                        // 00000000761C: BF82FDF7

0000000000007620 <label_130B>:
	v_cvt_f32_i32_e32 v60, v60                                 // 000000007620: 7E780B3C
	v_cvt_f32_i32_e32 v61, v61                                 // 000000007624: 7E7A0B3D
	v_cvt_f32_i32_e32 v62, v62                                 // 000000007628: 7E7C0B3E
	v_cvt_f32_i32_e32 v63, v63                                 // 00000000762C: 7E7E0B3F
	v_mul_f32_dpp v60, v24, v60 row_newbcast:0 row_mask:0xf bank_mask:0xf// 000000007630: 0A7878FA FF015018
	v_mul_f32_dpp v61, v24, v61 row_newbcast:1 row_mask:0xf bank_mask:0xf// 000000007638: 0A7A7AFA FF015118
	v_mul_f32_dpp v62, v24, v62 row_newbcast:2 row_mask:0xf bank_mask:0xf// 000000007640: 0A7C7CFA FF015218
	v_mul_f32_dpp v63, v24, v63 row_newbcast:3 row_mask:0xf bank_mask:0xf// 000000007648: 0A7E7EFA FF015318
	v_cvt_f32_i32_e32 v64, v64                                 // 000000007650: 7E800B40
	v_cvt_f32_i32_e32 v65, v65                                 // 000000007654: 7E820B41
	v_cvt_f32_i32_e32 v66, v66                                 // 000000007658: 7E840B42
	v_cvt_f32_i32_e32 v67, v67                                 // 00000000765C: 7E860B43
	v_mul_f32_dpp v64, v24, v64 row_newbcast:0 row_mask:0xf bank_mask:0xf// 000000007660: 0A8080FA FF015018
	v_mul_f32_dpp v65, v24, v65 row_newbcast:1 row_mask:0xf bank_mask:0xf// 000000007668: 0A8282FA FF015118
	v_mul_f32_dpp v66, v24, v66 row_newbcast:2 row_mask:0xf bank_mask:0xf// 000000007670: 0A8484FA FF015218
	v_mul_f32_dpp v67, v24, v67 row_newbcast:3 row_mask:0xf bank_mask:0xf// 000000007678: 0A8686FA FF015318
	v_cvt_f32_i32_e32 v68, v68                                 // 000000007680: 7E880B44
	v_cvt_f32_i32_e32 v69, v69                                 // 000000007684: 7E8A0B45
	v_cvt_f32_i32_e32 v70, v70                                 // 000000007688: 7E8C0B46
	v_cvt_f32_i32_e32 v71, v71                                 // 00000000768C: 7E8E0B47
	v_mul_f32_dpp v68, v24, v68 row_newbcast:0 row_mask:0xf bank_mask:0xf// 000000007690: 0A8888FA FF015018
	v_mul_f32_dpp v69, v24, v69 row_newbcast:1 row_mask:0xf bank_mask:0xf// 000000007698: 0A8A8AFA FF015118
	v_mul_f32_dpp v70, v24, v70 row_newbcast:2 row_mask:0xf bank_mask:0xf// 0000000076A0: 0A8C8CFA FF015218
	v_mul_f32_dpp v71, v24, v71 row_newbcast:3 row_mask:0xf bank_mask:0xf// 0000000076A8: 0A8E8EFA FF015318
	v_cvt_f32_i32_e32 v72, v72                                 // 0000000076B0: 7E900B48
	v_cvt_f32_i32_e32 v73, v73                                 // 0000000076B4: 7E920B49
	v_cvt_f32_i32_e32 v74, v74                                 // 0000000076B8: 7E940B4A
	v_cvt_f32_i32_e32 v75, v75                                 // 0000000076BC: 7E960B4B
	v_mul_f32_dpp v72, v24, v72 row_newbcast:0 row_mask:0xf bank_mask:0xf// 0000000076C0: 0A9090FA FF015018
	v_mul_f32_dpp v73, v24, v73 row_newbcast:1 row_mask:0xf bank_mask:0xf// 0000000076C8: 0A9292FA FF015118
	v_mul_f32_dpp v74, v24, v74 row_newbcast:2 row_mask:0xf bank_mask:0xf// 0000000076D0: 0A9494FA FF015218
	v_mul_f32_dpp v75, v24, v75 row_newbcast:3 row_mask:0xf bank_mask:0xf// 0000000076D8: 0A9696FA FF015318
	v_cvt_f32_i32_e32 v76, v76                                 // 0000000076E0: 7E980B4C
	v_cvt_f32_i32_e32 v77, v77                                 // 0000000076E4: 7E9A0B4D
	v_cvt_f32_i32_e32 v78, v78                                 // 0000000076E8: 7E9C0B4E
	v_cvt_f32_i32_e32 v79, v79                                 // 0000000076EC: 7E9E0B4F
	v_mul_f32_dpp v76, v24, v76 row_newbcast:0 row_mask:0xf bank_mask:0xf// 0000000076F0: 0A9898FA FF015018
	v_mul_f32_dpp v77, v24, v77 row_newbcast:1 row_mask:0xf bank_mask:0xf// 0000000076F8: 0A9A9AFA FF015118
	v_mul_f32_dpp v78, v24, v78 row_newbcast:2 row_mask:0xf bank_mask:0xf// 000000007700: 0A9C9CFA FF015218
	v_mul_f32_dpp v79, v24, v79 row_newbcast:3 row_mask:0xf bank_mask:0xf// 000000007708: 0A9E9EFA FF015318
	v_cvt_f32_i32_e32 v80, v80                                 // 000000007710: 7EA00B50
	v_cvt_f32_i32_e32 v81, v81                                 // 000000007714: 7EA20B51
	v_cvt_f32_i32_e32 v82, v82                                 // 000000007718: 7EA40B52
	v_cvt_f32_i32_e32 v83, v83                                 // 00000000771C: 7EA60B53
	v_mul_f32_dpp v80, v24, v80 row_newbcast:4 row_mask:0xf bank_mask:0xf// 000000007720: 0AA0A0FA FF015418
	v_mul_f32_dpp v81, v24, v81 row_newbcast:5 row_mask:0xf bank_mask:0xf// 000000007728: 0AA2A2FA FF015518
	v_mul_f32_dpp v82, v24, v82 row_newbcast:6 row_mask:0xf bank_mask:0xf// 000000007730: 0AA4A4FA FF015618
	v_mul_f32_dpp v83, v24, v83 row_newbcast:7 row_mask:0xf bank_mask:0xf// 000000007738: 0AA6A6FA FF015718
	v_cvt_f32_i32_e32 v84, v84                                 // 000000007740: 7EA80B54
	v_cvt_f32_i32_e32 v85, v85                                 // 000000007744: 7EAA0B55
	v_cvt_f32_i32_e32 v86, v86                                 // 000000007748: 7EAC0B56
	v_cvt_f32_i32_e32 v87, v87                                 // 00000000774C: 7EAE0B57
	v_mul_f32_dpp v84, v24, v84 row_newbcast:4 row_mask:0xf bank_mask:0xf// 000000007750: 0AA8A8FA FF015418
	v_mul_f32_dpp v85, v24, v85 row_newbcast:5 row_mask:0xf bank_mask:0xf// 000000007758: 0AAAAAFA FF015518
	v_mul_f32_dpp v86, v24, v86 row_newbcast:6 row_mask:0xf bank_mask:0xf// 000000007760: 0AACACFA FF015618
	v_mul_f32_dpp v87, v24, v87 row_newbcast:7 row_mask:0xf bank_mask:0xf// 000000007768: 0AAEAEFA FF015718
	v_cvt_f32_i32_e32 v88, v88                                 // 000000007770: 7EB00B58
	v_cvt_f32_i32_e32 v89, v89                                 // 000000007774: 7EB20B59
	v_cvt_f32_i32_e32 v90, v90                                 // 000000007778: 7EB40B5A
	v_cvt_f32_i32_e32 v91, v91                                 // 00000000777C: 7EB60B5B
	v_mul_f32_dpp v88, v24, v88 row_newbcast:4 row_mask:0xf bank_mask:0xf// 000000007780: 0AB0B0FA FF015418
	v_mul_f32_dpp v89, v24, v89 row_newbcast:5 row_mask:0xf bank_mask:0xf// 000000007788: 0AB2B2FA FF015518
	v_mul_f32_dpp v90, v24, v90 row_newbcast:6 row_mask:0xf bank_mask:0xf// 000000007790: 0AB4B4FA FF015618
	v_mul_f32_dpp v91, v24, v91 row_newbcast:7 row_mask:0xf bank_mask:0xf// 000000007798: 0AB6B6FA FF015718
	v_cvt_f32_i32_e32 v92, v92                                 // 0000000077A0: 7EB80B5C
	v_cvt_f32_i32_e32 v93, v93                                 // 0000000077A4: 7EBA0B5D
	v_cvt_f32_i32_e32 v94, v94                                 // 0000000077A8: 7EBC0B5E
	v_cvt_f32_i32_e32 v95, v95                                 // 0000000077AC: 7EBE0B5F
	v_mul_f32_dpp v92, v24, v92 row_newbcast:4 row_mask:0xf bank_mask:0xf// 0000000077B0: 0AB8B8FA FF015418
	v_mul_f32_dpp v93, v24, v93 row_newbcast:5 row_mask:0xf bank_mask:0xf// 0000000077B8: 0ABABAFA FF015518
	v_mul_f32_dpp v94, v24, v94 row_newbcast:6 row_mask:0xf bank_mask:0xf// 0000000077C0: 0ABCBCFA FF015618
	v_mul_f32_dpp v95, v24, v95 row_newbcast:7 row_mask:0xf bank_mask:0xf// 0000000077C8: 0ABEBEFA FF015718
	v_cvt_f32_i32_e32 v96, v96                                 // 0000000077D0: 7EC00B60
	v_cvt_f32_i32_e32 v97, v97                                 // 0000000077D4: 7EC20B61
	v_cvt_f32_i32_e32 v98, v98                                 // 0000000077D8: 7EC40B62
	v_cvt_f32_i32_e32 v99, v99                                 // 0000000077DC: 7EC60B63
	v_mul_f32_dpp v96, v24, v96 row_newbcast:4 row_mask:0xf bank_mask:0xf// 0000000077E0: 0AC0C0FA FF015418
	v_mul_f32_dpp v97, v24, v97 row_newbcast:5 row_mask:0xf bank_mask:0xf// 0000000077E8: 0AC2C2FA FF015518
	v_mul_f32_dpp v98, v24, v98 row_newbcast:6 row_mask:0xf bank_mask:0xf// 0000000077F0: 0AC4C4FA FF015618
	v_mul_f32_dpp v99, v24, v99 row_newbcast:7 row_mask:0xf bank_mask:0xf// 0000000077F8: 0AC6C6FA FF015718
	v_cvt_f32_i32_e32 v100, v100                               // 000000007800: 7EC80B64
	v_cvt_f32_i32_e32 v101, v101                               // 000000007804: 7ECA0B65
	v_cvt_f32_i32_e32 v102, v102                               // 000000007808: 7ECC0B66
	v_cvt_f32_i32_e32 v103, v103                               // 00000000780C: 7ECE0B67
	v_mul_f32_dpp v100, v26, v100 row_newbcast:0 row_mask:0xf bank_mask:0xf// 000000007810: 0AC8C8FA FF01501A
	v_mul_f32_dpp v101, v26, v101 row_newbcast:1 row_mask:0xf bank_mask:0xf// 000000007818: 0ACACAFA FF01511A
	v_mul_f32_dpp v102, v26, v102 row_newbcast:2 row_mask:0xf bank_mask:0xf// 000000007820: 0ACCCCFA FF01521A
	v_mul_f32_dpp v103, v26, v103 row_newbcast:3 row_mask:0xf bank_mask:0xf// 000000007828: 0ACECEFA FF01531A
	v_cvt_f32_i32_e32 v104, v104                               // 000000007830: 7ED00B68
	v_cvt_f32_i32_e32 v105, v105                               // 000000007834: 7ED20B69
	v_cvt_f32_i32_e32 v106, v106                               // 000000007838: 7ED40B6A
	v_cvt_f32_i32_e32 v107, v107                               // 00000000783C: 7ED60B6B
	v_mul_f32_dpp v104, v26, v104 row_newbcast:0 row_mask:0xf bank_mask:0xf// 000000007840: 0AD0D0FA FF01501A
	v_mul_f32_dpp v105, v26, v105 row_newbcast:1 row_mask:0xf bank_mask:0xf// 000000007848: 0AD2D2FA FF01511A
	v_mul_f32_dpp v106, v26, v106 row_newbcast:2 row_mask:0xf bank_mask:0xf// 000000007850: 0AD4D4FA FF01521A
	v_mul_f32_dpp v107, v26, v107 row_newbcast:3 row_mask:0xf bank_mask:0xf// 000000007858: 0AD6D6FA FF01531A
	v_cvt_f32_i32_e32 v108, v108                               // 000000007860: 7ED80B6C
	v_cvt_f32_i32_e32 v109, v109                               // 000000007864: 7EDA0B6D
	v_cvt_f32_i32_e32 v110, v110                               // 000000007868: 7EDC0B6E
	v_cvt_f32_i32_e32 v111, v111                               // 00000000786C: 7EDE0B6F
	v_mul_f32_dpp v108, v26, v108 row_newbcast:0 row_mask:0xf bank_mask:0xf// 000000007870: 0AD8D8FA FF01501A
	v_mul_f32_dpp v109, v26, v109 row_newbcast:1 row_mask:0xf bank_mask:0xf// 000000007878: 0ADADAFA FF01511A
	v_mul_f32_dpp v110, v26, v110 row_newbcast:2 row_mask:0xf bank_mask:0xf// 000000007880: 0ADCDCFA FF01521A
	v_mul_f32_dpp v111, v26, v111 row_newbcast:3 row_mask:0xf bank_mask:0xf// 000000007888: 0ADEDEFA FF01531A
	v_cvt_f32_i32_e32 v112, v112                               // 000000007890: 7EE00B70
	v_cvt_f32_i32_e32 v113, v113                               // 000000007894: 7EE20B71
	v_cvt_f32_i32_e32 v114, v114                               // 000000007898: 7EE40B72
	v_cvt_f32_i32_e32 v115, v115                               // 00000000789C: 7EE60B73
	v_mul_f32_dpp v112, v26, v112 row_newbcast:0 row_mask:0xf bank_mask:0xf// 0000000078A0: 0AE0E0FA FF01501A
	v_mul_f32_dpp v113, v26, v113 row_newbcast:1 row_mask:0xf bank_mask:0xf// 0000000078A8: 0AE2E2FA FF01511A
	v_mul_f32_dpp v114, v26, v114 row_newbcast:2 row_mask:0xf bank_mask:0xf// 0000000078B0: 0AE4E4FA FF01521A
	v_mul_f32_dpp v115, v26, v115 row_newbcast:3 row_mask:0xf bank_mask:0xf// 0000000078B8: 0AE6E6FA FF01531A
	v_cvt_f32_i32_e32 v116, v116                               // 0000000078C0: 7EE80B74
	v_cvt_f32_i32_e32 v117, v117                               // 0000000078C4: 7EEA0B75
	v_cvt_f32_i32_e32 v118, v118                               // 0000000078C8: 7EEC0B76
	v_cvt_f32_i32_e32 v119, v119                               // 0000000078CC: 7EEE0B77
	v_mul_f32_dpp v116, v26, v116 row_newbcast:0 row_mask:0xf bank_mask:0xf// 0000000078D0: 0AE8E8FA FF01501A
	v_mul_f32_dpp v117, v26, v117 row_newbcast:1 row_mask:0xf bank_mask:0xf// 0000000078D8: 0AEAEAFA FF01511A
	v_mul_f32_dpp v118, v26, v118 row_newbcast:2 row_mask:0xf bank_mask:0xf// 0000000078E0: 0AECECFA FF01521A
	v_mul_f32_dpp v119, v26, v119 row_newbcast:3 row_mask:0xf bank_mask:0xf// 0000000078E8: 0AEEEEFA FF01531A
	v_cvt_f32_i32_e32 v120, v120                               // 0000000078F0: 7EF00B78
	v_cvt_f32_i32_e32 v121, v121                               // 0000000078F4: 7EF20B79
	v_cvt_f32_i32_e32 v122, v122                               // 0000000078F8: 7EF40B7A
	v_cvt_f32_i32_e32 v123, v123                               // 0000000078FC: 7EF60B7B
	v_mul_f32_dpp v120, v26, v120 row_newbcast:4 row_mask:0xf bank_mask:0xf// 000000007900: 0AF0F0FA FF01541A
	v_mul_f32_dpp v121, v26, v121 row_newbcast:5 row_mask:0xf bank_mask:0xf// 000000007908: 0AF2F2FA FF01551A
	v_mul_f32_dpp v122, v26, v122 row_newbcast:6 row_mask:0xf bank_mask:0xf// 000000007910: 0AF4F4FA FF01561A
	v_mul_f32_dpp v123, v26, v123 row_newbcast:7 row_mask:0xf bank_mask:0xf// 000000007918: 0AF6F6FA FF01571A
	v_cvt_f32_i32_e32 v124, v124                               // 000000007920: 7EF80B7C
	v_cvt_f32_i32_e32 v125, v125                               // 000000007924: 7EFA0B7D
	v_cvt_f32_i32_e32 v126, v126                               // 000000007928: 7EFC0B7E
	v_cvt_f32_i32_e32 v127, v127                               // 00000000792C: 7EFE0B7F
	v_mul_f32_dpp v124, v26, v124 row_newbcast:4 row_mask:0xf bank_mask:0xf// 000000007930: 0AF8F8FA FF01541A
	v_mul_f32_dpp v125, v26, v125 row_newbcast:5 row_mask:0xf bank_mask:0xf// 000000007938: 0AFAFAFA FF01551A
	v_mul_f32_dpp v126, v26, v126 row_newbcast:6 row_mask:0xf bank_mask:0xf// 000000007940: 0AFCFCFA FF01561A
	v_mul_f32_dpp v127, v26, v127 row_newbcast:7 row_mask:0xf bank_mask:0xf// 000000007948: 0AFEFEFA FF01571A
	v_cvt_f32_i32_e32 v128, v128                               // 000000007950: 7F000B80
	v_cvt_f32_i32_e32 v129, v129                               // 000000007954: 7F020B81
	v_cvt_f32_i32_e32 v130, v130                               // 000000007958: 7F040B82
	v_cvt_f32_i32_e32 v131, v131                               // 00000000795C: 7F060B83
	v_mul_f32_dpp v128, v26, v128 row_newbcast:4 row_mask:0xf bank_mask:0xf// 000000007960: 0B0100FA FF01541A
	v_mul_f32_dpp v129, v26, v129 row_newbcast:5 row_mask:0xf bank_mask:0xf// 000000007968: 0B0302FA FF01551A
	v_mul_f32_dpp v130, v26, v130 row_newbcast:6 row_mask:0xf bank_mask:0xf// 000000007970: 0B0504FA FF01561A
	v_mul_f32_dpp v131, v26, v131 row_newbcast:7 row_mask:0xf bank_mask:0xf// 000000007978: 0B0706FA FF01571A
	v_cvt_f32_i32_e32 v132, v132                               // 000000007980: 7F080B84
	v_cvt_f32_i32_e32 v133, v133                               // 000000007984: 7F0A0B85
	v_cvt_f32_i32_e32 v134, v134                               // 000000007988: 7F0C0B86
	v_cvt_f32_i32_e32 v135, v135                               // 00000000798C: 7F0E0B87
	v_mul_f32_dpp v132, v26, v132 row_newbcast:4 row_mask:0xf bank_mask:0xf// 000000007990: 0B0908FA FF01541A
	v_mul_f32_dpp v133, v26, v133 row_newbcast:5 row_mask:0xf bank_mask:0xf// 000000007998: 0B0B0AFA FF01551A
	v_mul_f32_dpp v134, v26, v134 row_newbcast:6 row_mask:0xf bank_mask:0xf// 0000000079A0: 0B0D0CFA FF01561A
	v_mul_f32_dpp v135, v26, v135 row_newbcast:7 row_mask:0xf bank_mask:0xf// 0000000079A8: 0B0F0EFA FF01571A
	v_cvt_f32_i32_e32 v136, v136                               // 0000000079B0: 7F100B88
	v_cvt_f32_i32_e32 v137, v137                               // 0000000079B4: 7F120B89
	v_cvt_f32_i32_e32 v138, v138                               // 0000000079B8: 7F140B8A
	v_cvt_f32_i32_e32 v139, v139                               // 0000000079BC: 7F160B8B
	v_mul_f32_dpp v136, v26, v136 row_newbcast:4 row_mask:0xf bank_mask:0xf// 0000000079C0: 0B1110FA FF01541A
	v_mul_f32_dpp v137, v26, v137 row_newbcast:5 row_mask:0xf bank_mask:0xf// 0000000079C8: 0B1312FA FF01551A
	v_mul_f32_dpp v138, v26, v138 row_newbcast:6 row_mask:0xf bank_mask:0xf// 0000000079D0: 0B1514FA FF01561A
	v_mul_f32_dpp v139, v26, v139 row_newbcast:7 row_mask:0xf bank_mask:0xf// 0000000079D8: 0B1716FA FF01571A
	v_mov_b32_e32 v4, v33                                      // 0000000079E0: 7E080321
	v_mov_b32_e32 v5, v4                                       // 0000000079E4: 7E0A0304
	v_pk_mul_f32 v[60:61], v[4:5], v[60:61]                    // 0000000079E8: D3B1403C 18027904
	v_pk_mul_f32 v[100:101], v[4:5], v[100:101]                // 0000000079F0: D3B14064 1802C904
	v_pk_mul_f32 v[62:63], v[4:5], v[62:63]                    // 0000000079F8: D3B1403E 18027D04
	v_pk_mul_f32 v[102:103], v[4:5], v[102:103]                // 000000007A00: D3B14066 1802CD04
	v_pk_mul_f32 v[80:81], v[4:5], v[80:81]                    // 000000007A08: D3B14050 1802A104
	v_pk_mul_f32 v[120:121], v[4:5], v[120:121]                // 000000007A10: D3B14078 1802F104
	v_pk_mul_f32 v[82:83], v[4:5], v[82:83]                    // 000000007A18: D3B14052 1802A504
	v_pk_mul_f32 v[122:123], v[4:5], v[122:123]                // 000000007A20: D3B1407A 1802F504
	v_mov_b32_e32 v4, v34                                      // 000000007A28: 7E080322
	v_mov_b32_e32 v5, v4                                       // 000000007A2C: 7E0A0304
	v_pk_mul_f32 v[64:65], v[4:5], v[64:65]                    // 000000007A30: D3B14040 18028104
	v_pk_mul_f32 v[104:105], v[4:5], v[104:105]                // 000000007A38: D3B14068 1802D104
	v_pk_mul_f32 v[66:67], v[4:5], v[66:67]                    // 000000007A40: D3B14042 18028504
	v_pk_mul_f32 v[106:107], v[4:5], v[106:107]                // 000000007A48: D3B1406A 1802D504
	v_pk_mul_f32 v[84:85], v[4:5], v[84:85]                    // 000000007A50: D3B14054 1802A904
	v_pk_mul_f32 v[124:125], v[4:5], v[124:125]                // 000000007A58: D3B1407C 1802F904
	v_pk_mul_f32 v[86:87], v[4:5], v[86:87]                    // 000000007A60: D3B14056 1802AD04
	v_pk_mul_f32 v[126:127], v[4:5], v[126:127]                // 000000007A68: D3B1407E 1802FD04
	v_mov_b32_e32 v4, v35                                      // 000000007A70: 7E080323
	v_mov_b32_e32 v5, v4                                       // 000000007A74: 7E0A0304
	v_pk_mul_f32 v[68:69], v[4:5], v[68:69]                    // 000000007A78: D3B14044 18028904
	v_pk_mul_f32 v[108:109], v[4:5], v[108:109]                // 000000007A80: D3B1406C 1802D904
	v_pk_mul_f32 v[70:71], v[4:5], v[70:71]                    // 000000007A88: D3B14046 18028D04
	v_pk_mul_f32 v[110:111], v[4:5], v[110:111]                // 000000007A90: D3B1406E 1802DD04
	v_pk_mul_f32 v[88:89], v[4:5], v[88:89]                    // 000000007A98: D3B14058 1802B104
	v_pk_mul_f32 v[128:129], v[4:5], v[128:129]                // 000000007AA0: D3B14080 18030104
	v_pk_mul_f32 v[90:91], v[4:5], v[90:91]                    // 000000007AA8: D3B1405A 1802B504
	v_pk_mul_f32 v[130:131], v[4:5], v[130:131]                // 000000007AB0: D3B14082 18030504
	v_mov_b32_e32 v4, v36                                      // 000000007AB8: 7E080324
	v_mov_b32_e32 v5, v4                                       // 000000007ABC: 7E0A0304
	v_pk_mul_f32 v[72:73], v[4:5], v[72:73]                    // 000000007AC0: D3B14048 18029104
	v_pk_mul_f32 v[112:113], v[4:5], v[112:113]                // 000000007AC8: D3B14070 1802E104
	v_pk_mul_f32 v[74:75], v[4:5], v[74:75]                    // 000000007AD0: D3B1404A 18029504
	v_pk_mul_f32 v[114:115], v[4:5], v[114:115]                // 000000007AD8: D3B14072 1802E504
	v_pk_mul_f32 v[92:93], v[4:5], v[92:93]                    // 000000007AE0: D3B1405C 1802B904
	v_pk_mul_f32 v[132:133], v[4:5], v[132:133]                // 000000007AE8: D3B14084 18030904
	v_pk_mul_f32 v[94:95], v[4:5], v[94:95]                    // 000000007AF0: D3B1405E 1802BD04
	v_pk_mul_f32 v[134:135], v[4:5], v[134:135]                // 000000007AF8: D3B14086 18030D04
	v_mov_b32_e32 v4, v37                                      // 000000007B00: 7E080325
	v_mov_b32_e32 v5, v4                                       // 000000007B04: 7E0A0304
	v_pk_mul_f32 v[76:77], v[4:5], v[76:77]                    // 000000007B08: D3B1404C 18029904
	v_pk_mul_f32 v[116:117], v[4:5], v[116:117]                // 000000007B10: D3B14074 1802E904
	v_pk_mul_f32 v[78:79], v[4:5], v[78:79]                    // 000000007B18: D3B1404E 18029D04
	v_pk_mul_f32 v[118:119], v[4:5], v[118:119]                // 000000007B20: D3B14076 1802ED04
	v_pk_mul_f32 v[96:97], v[4:5], v[96:97]                    // 000000007B28: D3B14060 1802C104
	v_pk_mul_f32 v[136:137], v[4:5], v[136:137]                // 000000007B30: D3B14088 18031104
	v_pk_mul_f32 v[98:99], v[4:5], v[98:99]                    // 000000007B38: D3B14062 1802C504
	v_pk_mul_f32 v[138:139], v[4:5], v[138:139]                // 000000007B40: D3B1408A 18031504
	s_cmp_eq_u32 s88, 0                                        // 000000007B48: BF068058
	s_cbranch_scc0 label_1A40                                  // 000000007B4C: BF8405E9
	s_cmp_eq_u32 s89, 0                                        // 000000007B50: BF068059
	s_cbranch_scc1 label_15EE                                  // 000000007B54: BF850195
	v_mov_b32_e32 v8, v1                                       // 000000007B58: 7E100301
	v_mov_b32_e32 v9, v1                                       // 000000007B5C: 7E120301
	s_mov_b32 s60, s6                                          // 000000007B60: BEBC0006
	s_mov_b32 s61, s6                                          // 000000007B64: BEBD0006
	v_pk_mul_f32 v[4:5], v[60:61], v[60:61]                    // 000000007B68: D3B14004 1802793C
	v_pk_mul_f32 v[6:7], v[62:63], v[62:63]                    // 000000007B70: D3B14006 18027D3E
	v_pk_fma_f32 v[4:5], v[4:5], s[78:79], v[8:9]              // 000000007B78: D3B04004 1C209D04
	v_pk_fma_f32 v[6:7], v[6:7], s[78:79], v[8:9]              // 000000007B80: D3B04006 1C209D06
	v_pk_mul_f32 v[4:5], v[4:5], v[60:61]                      // 000000007B88: D3B14004 18027904
	v_pk_mul_f32 v[6:7], v[6:7], v[62:63]                      // 000000007B90: D3B14006 18027D06
	v_pk_mul_f32 v[4:5], v[4:5], s[60:61]                      // 000000007B98: D3B14004 18007904
	v_pk_mul_f32 v[6:7], v[6:7], s[60:61]                      // 000000007BA0: D3B14006 18007906
	v_exp_f32_e32 v4, v4                                       // 000000007BA8: 7E084104
	v_exp_f32_e32 v5, v5                                       // 000000007BAC: 7E0A4105
	v_exp_f32_e32 v6, v6                                       // 000000007BB0: 7E0C4106
	v_exp_f32_e32 v7, v7                                       // 000000007BB4: 7E0E4107
	v_add_f32_e64 v4, v4, 1.0                                  // 000000007BB8: D1010004 0001E504
	v_add_f32_e64 v5, v5, 1.0                                  // 000000007BC0: D1010005 0001E505
	v_add_f32_e64 v6, v6, 1.0                                  // 000000007BC8: D1010006 0001E506
	v_add_f32_e64 v7, v7, 1.0                                  // 000000007BD0: D1010007 0001E507
	v_rcp_f32_e32 v4, v4                                       // 000000007BD8: 7E084504
	v_rcp_f32_e32 v5, v5                                       // 000000007BDC: 7E0A4505
	v_rcp_f32_e32 v6, v6                                       // 000000007BE0: 7E0C4506
	v_rcp_f32_e32 v7, v7                                       // 000000007BE4: 7E0E4507
	v_mul_f32_e32 v60, v60, v4                                 // 000000007BE8: 0A78093C
	v_mul_f32_e32 v61, v61, v5                                 // 000000007BEC: 0A7A0B3D
	v_mul_f32_e32 v62, v62, v6                                 // 000000007BF0: 0A7C0D3E
	v_mul_f32_e32 v63, v63, v7                                 // 000000007BF4: 0A7E0F3F
	v_mul_f32_e32 v60, v60, v100                               // 000000007BF8: 0A78C93C
	v_mul_f32_e32 v61, v61, v101                               // 000000007BFC: 0A7ACB3D
	v_mul_f32_e32 v62, v62, v102                               // 000000007C00: 0A7CCD3E
	v_mul_f32_e32 v63, v63, v103                               // 000000007C04: 0A7ECF3F
	v_pk_mul_f32 v[4:5], v[64:65], v[64:65]                    // 000000007C08: D3B14004 18028140
	v_pk_mul_f32 v[6:7], v[66:67], v[66:67]                    // 000000007C10: D3B14006 18028542
	v_pk_fma_f32 v[4:5], v[4:5], s[78:79], v[8:9]              // 000000007C18: D3B04004 1C209D04
	v_pk_fma_f32 v[6:7], v[6:7], s[78:79], v[8:9]              // 000000007C20: D3B04006 1C209D06
	v_pk_mul_f32 v[4:5], v[4:5], v[64:65]                      // 000000007C28: D3B14004 18028104
	v_pk_mul_f32 v[6:7], v[6:7], v[66:67]                      // 000000007C30: D3B14006 18028506
	v_pk_mul_f32 v[4:5], v[4:5], s[60:61]                      // 000000007C38: D3B14004 18007904
	v_pk_mul_f32 v[6:7], v[6:7], s[60:61]                      // 000000007C40: D3B14006 18007906
	v_exp_f32_e32 v4, v4                                       // 000000007C48: 7E084104
	v_exp_f32_e32 v5, v5                                       // 000000007C4C: 7E0A4105
	v_exp_f32_e32 v6, v6                                       // 000000007C50: 7E0C4106
	v_exp_f32_e32 v7, v7                                       // 000000007C54: 7E0E4107
	v_add_f32_e64 v4, v4, 1.0                                  // 000000007C58: D1010004 0001E504
	v_add_f32_e64 v5, v5, 1.0                                  // 000000007C60: D1010005 0001E505
	v_add_f32_e64 v6, v6, 1.0                                  // 000000007C68: D1010006 0001E506
	v_add_f32_e64 v7, v7, 1.0                                  // 000000007C70: D1010007 0001E507
	v_rcp_f32_e32 v4, v4                                       // 000000007C78: 7E084504
	v_rcp_f32_e32 v5, v5                                       // 000000007C7C: 7E0A4505
	v_rcp_f32_e32 v6, v6                                       // 000000007C80: 7E0C4506
	v_rcp_f32_e32 v7, v7                                       // 000000007C84: 7E0E4507
	v_mul_f32_e32 v64, v64, v4                                 // 000000007C88: 0A800940
	v_mul_f32_e32 v65, v65, v5                                 // 000000007C8C: 0A820B41
	v_mul_f32_e32 v66, v66, v6                                 // 000000007C90: 0A840D42
	v_mul_f32_e32 v67, v67, v7                                 // 000000007C94: 0A860F43
	v_mul_f32_e32 v64, v64, v104                               // 000000007C98: 0A80D140
	v_mul_f32_e32 v65, v65, v105                               // 000000007C9C: 0A82D341
	v_mul_f32_e32 v66, v66, v106                               // 000000007CA0: 0A84D542
	v_mul_f32_e32 v67, v67, v107                               // 000000007CA4: 0A86D743
	v_pk_mul_f32 v[4:5], v[68:69], v[68:69]                    // 000000007CA8: D3B14004 18028944
	v_pk_mul_f32 v[6:7], v[70:71], v[70:71]                    // 000000007CB0: D3B14006 18028D46
	v_pk_fma_f32 v[4:5], v[4:5], s[78:79], v[8:9]              // 000000007CB8: D3B04004 1C209D04
	v_pk_fma_f32 v[6:7], v[6:7], s[78:79], v[8:9]              // 000000007CC0: D3B04006 1C209D06
	v_pk_mul_f32 v[4:5], v[4:5], v[68:69]                      // 000000007CC8: D3B14004 18028904
	v_pk_mul_f32 v[6:7], v[6:7], v[70:71]                      // 000000007CD0: D3B14006 18028D06
	v_pk_mul_f32 v[4:5], v[4:5], s[60:61]                      // 000000007CD8: D3B14004 18007904
	v_pk_mul_f32 v[6:7], v[6:7], s[60:61]                      // 000000007CE0: D3B14006 18007906
	v_exp_f32_e32 v4, v4                                       // 000000007CE8: 7E084104
	v_exp_f32_e32 v5, v5                                       // 000000007CEC: 7E0A4105
	v_exp_f32_e32 v6, v6                                       // 000000007CF0: 7E0C4106
	v_exp_f32_e32 v7, v7                                       // 000000007CF4: 7E0E4107
	v_add_f32_e64 v4, v4, 1.0                                  // 000000007CF8: D1010004 0001E504
	v_add_f32_e64 v5, v5, 1.0                                  // 000000007D00: D1010005 0001E505
	v_add_f32_e64 v6, v6, 1.0                                  // 000000007D08: D1010006 0001E506
	v_add_f32_e64 v7, v7, 1.0                                  // 000000007D10: D1010007 0001E507
	v_rcp_f32_e32 v4, v4                                       // 000000007D18: 7E084504
	v_rcp_f32_e32 v5, v5                                       // 000000007D1C: 7E0A4505
	v_rcp_f32_e32 v6, v6                                       // 000000007D20: 7E0C4506
	v_rcp_f32_e32 v7, v7                                       // 000000007D24: 7E0E4507
	v_mul_f32_e32 v68, v68, v4                                 // 000000007D28: 0A880944
	v_mul_f32_e32 v69, v69, v5                                 // 000000007D2C: 0A8A0B45
	v_mul_f32_e32 v70, v70, v6                                 // 000000007D30: 0A8C0D46
	v_mul_f32_e32 v71, v71, v7                                 // 000000007D34: 0A8E0F47
	v_mul_f32_e32 v68, v68, v108                               // 000000007D38: 0A88D944
	v_mul_f32_e32 v69, v69, v109                               // 000000007D3C: 0A8ADB45
	v_mul_f32_e32 v70, v70, v110                               // 000000007D40: 0A8CDD46
	v_mul_f32_e32 v71, v71, v111                               // 000000007D44: 0A8EDF47
	v_pk_mul_f32 v[4:5], v[72:73], v[72:73]                    // 000000007D48: D3B14004 18029148
	v_pk_mul_f32 v[6:7], v[74:75], v[74:75]                    // 000000007D50: D3B14006 1802954A
	v_pk_fma_f32 v[4:5], v[4:5], s[78:79], v[8:9]              // 000000007D58: D3B04004 1C209D04
	v_pk_fma_f32 v[6:7], v[6:7], s[78:79], v[8:9]              // 000000007D60: D3B04006 1C209D06
	v_pk_mul_f32 v[4:5], v[4:5], v[72:73]                      // 000000007D68: D3B14004 18029104
	v_pk_mul_f32 v[6:7], v[6:7], v[74:75]                      // 000000007D70: D3B14006 18029506
	v_pk_mul_f32 v[4:5], v[4:5], s[60:61]                      // 000000007D78: D3B14004 18007904
	v_pk_mul_f32 v[6:7], v[6:7], s[60:61]                      // 000000007D80: D3B14006 18007906
	v_exp_f32_e32 v4, v4                                       // 000000007D88: 7E084104
	v_exp_f32_e32 v5, v5                                       // 000000007D8C: 7E0A4105
	v_exp_f32_e32 v6, v6                                       // 000000007D90: 7E0C4106
	v_exp_f32_e32 v7, v7                                       // 000000007D94: 7E0E4107
	v_add_f32_e64 v4, v4, 1.0                                  // 000000007D98: D1010004 0001E504
	v_add_f32_e64 v5, v5, 1.0                                  // 000000007DA0: D1010005 0001E505
	v_add_f32_e64 v6, v6, 1.0                                  // 000000007DA8: D1010006 0001E506
	v_add_f32_e64 v7, v7, 1.0                                  // 000000007DB0: D1010007 0001E507
	v_rcp_f32_e32 v4, v4                                       // 000000007DB8: 7E084504
	v_rcp_f32_e32 v5, v5                                       // 000000007DBC: 7E0A4505
	v_rcp_f32_e32 v6, v6                                       // 000000007DC0: 7E0C4506
	v_rcp_f32_e32 v7, v7                                       // 000000007DC4: 7E0E4507
	v_mul_f32_e32 v72, v72, v4                                 // 000000007DC8: 0A900948
	v_mul_f32_e32 v73, v73, v5                                 // 000000007DCC: 0A920B49
	v_mul_f32_e32 v74, v74, v6                                 // 000000007DD0: 0A940D4A
	v_mul_f32_e32 v75, v75, v7                                 // 000000007DD4: 0A960F4B
	v_mul_f32_e32 v72, v72, v112                               // 000000007DD8: 0A90E148
	v_mul_f32_e32 v73, v73, v113                               // 000000007DDC: 0A92E349
	v_mul_f32_e32 v74, v74, v114                               // 000000007DE0: 0A94E54A
	v_mul_f32_e32 v75, v75, v115                               // 000000007DE4: 0A96E74B
	v_pk_mul_f32 v[4:5], v[76:77], v[76:77]                    // 000000007DE8: D3B14004 1802994C
	v_pk_mul_f32 v[6:7], v[78:79], v[78:79]                    // 000000007DF0: D3B14006 18029D4E
	v_pk_fma_f32 v[4:5], v[4:5], s[78:79], v[8:9]              // 000000007DF8: D3B04004 1C209D04
	v_pk_fma_f32 v[6:7], v[6:7], s[78:79], v[8:9]              // 000000007E00: D3B04006 1C209D06
	v_pk_mul_f32 v[4:5], v[4:5], v[76:77]                      // 000000007E08: D3B14004 18029904
	v_pk_mul_f32 v[6:7], v[6:7], v[78:79]                      // 000000007E10: D3B14006 18029D06
	v_pk_mul_f32 v[4:5], v[4:5], s[60:61]                      // 000000007E18: D3B14004 18007904
	v_pk_mul_f32 v[6:7], v[6:7], s[60:61]                      // 000000007E20: D3B14006 18007906
	v_exp_f32_e32 v4, v4                                       // 000000007E28: 7E084104
	v_exp_f32_e32 v5, v5                                       // 000000007E2C: 7E0A4105
	v_exp_f32_e32 v6, v6                                       // 000000007E30: 7E0C4106
	v_exp_f32_e32 v7, v7                                       // 000000007E34: 7E0E4107
	v_add_f32_e64 v4, v4, 1.0                                  // 000000007E38: D1010004 0001E504
	v_add_f32_e64 v5, v5, 1.0                                  // 000000007E40: D1010005 0001E505
	v_add_f32_e64 v6, v6, 1.0                                  // 000000007E48: D1010006 0001E506
	v_add_f32_e64 v7, v7, 1.0                                  // 000000007E50: D1010007 0001E507
	v_rcp_f32_e32 v4, v4                                       // 000000007E58: 7E084504
	v_rcp_f32_e32 v5, v5                                       // 000000007E5C: 7E0A4505
	v_rcp_f32_e32 v6, v6                                       // 000000007E60: 7E0C4506
	v_rcp_f32_e32 v7, v7                                       // 000000007E64: 7E0E4507
	v_mul_f32_e32 v76, v76, v4                                 // 000000007E68: 0A98094C
	v_mul_f32_e32 v77, v77, v5                                 // 000000007E6C: 0A9A0B4D
	v_mul_f32_e32 v78, v78, v6                                 // 000000007E70: 0A9C0D4E
	v_mul_f32_e32 v79, v79, v7                                 // 000000007E74: 0A9E0F4F
	v_mul_f32_e32 v76, v76, v116                               // 000000007E78: 0A98E94C
	v_mul_f32_e32 v77, v77, v117                               // 000000007E7C: 0A9AEB4D
	v_mul_f32_e32 v78, v78, v118                               // 000000007E80: 0A9CED4E
	v_mul_f32_e32 v79, v79, v119                               // 000000007E84: 0A9EEF4F
	v_pk_mul_f32 v[4:5], v[80:81], v[80:81]                    // 000000007E88: D3B14004 1802A150
	v_pk_mul_f32 v[6:7], v[82:83], v[82:83]                    // 000000007E90: D3B14006 1802A552
	v_pk_fma_f32 v[4:5], v[4:5], s[78:79], v[8:9]              // 000000007E98: D3B04004 1C209D04
	v_pk_fma_f32 v[6:7], v[6:7], s[78:79], v[8:9]              // 000000007EA0: D3B04006 1C209D06
	v_pk_mul_f32 v[4:5], v[4:5], v[80:81]                      // 000000007EA8: D3B14004 1802A104
	v_pk_mul_f32 v[6:7], v[6:7], v[82:83]                      // 000000007EB0: D3B14006 1802A506
	v_pk_mul_f32 v[4:5], v[4:5], s[60:61]                      // 000000007EB8: D3B14004 18007904
	v_pk_mul_f32 v[6:7], v[6:7], s[60:61]                      // 000000007EC0: D3B14006 18007906
	v_exp_f32_e32 v4, v4                                       // 000000007EC8: 7E084104
	v_exp_f32_e32 v5, v5                                       // 000000007ECC: 7E0A4105
	v_exp_f32_e32 v6, v6                                       // 000000007ED0: 7E0C4106
	v_exp_f32_e32 v7, v7                                       // 000000007ED4: 7E0E4107
	v_add_f32_e64 v4, v4, 1.0                                  // 000000007ED8: D1010004 0001E504
	v_add_f32_e64 v5, v5, 1.0                                  // 000000007EE0: D1010005 0001E505
	v_add_f32_e64 v6, v6, 1.0                                  // 000000007EE8: D1010006 0001E506
	v_add_f32_e64 v7, v7, 1.0                                  // 000000007EF0: D1010007 0001E507
	v_rcp_f32_e32 v4, v4                                       // 000000007EF8: 7E084504
	v_rcp_f32_e32 v5, v5                                       // 000000007EFC: 7E0A4505
	v_rcp_f32_e32 v6, v6                                       // 000000007F00: 7E0C4506
	v_rcp_f32_e32 v7, v7                                       // 000000007F04: 7E0E4507
	v_mul_f32_e32 v80, v80, v4                                 // 000000007F08: 0AA00950
	v_mul_f32_e32 v81, v81, v5                                 // 000000007F0C: 0AA20B51
	v_mul_f32_e32 v82, v82, v6                                 // 000000007F10: 0AA40D52
	v_mul_f32_e32 v83, v83, v7                                 // 000000007F14: 0AA60F53
	v_mul_f32_e32 v80, v80, v120                               // 000000007F18: 0AA0F150
	v_mul_f32_e32 v81, v81, v121                               // 000000007F1C: 0AA2F351
	v_mul_f32_e32 v82, v82, v122                               // 000000007F20: 0AA4F552
	v_mul_f32_e32 v83, v83, v123                               // 000000007F24: 0AA6F753
	v_pk_mul_f32 v[4:5], v[84:85], v[84:85]                    // 000000007F28: D3B14004 1802A954
	v_pk_mul_f32 v[6:7], v[86:87], v[86:87]                    // 000000007F30: D3B14006 1802AD56
	v_pk_fma_f32 v[4:5], v[4:5], s[78:79], v[8:9]              // 000000007F38: D3B04004 1C209D04
	v_pk_fma_f32 v[6:7], v[6:7], s[78:79], v[8:9]              // 000000007F40: D3B04006 1C209D06
	v_pk_mul_f32 v[4:5], v[4:5], v[84:85]                      // 000000007F48: D3B14004 1802A904
	v_pk_mul_f32 v[6:7], v[6:7], v[86:87]                      // 000000007F50: D3B14006 1802AD06
	v_pk_mul_f32 v[4:5], v[4:5], s[60:61]                      // 000000007F58: D3B14004 18007904
	v_pk_mul_f32 v[6:7], v[6:7], s[60:61]                      // 000000007F60: D3B14006 18007906
	v_exp_f32_e32 v4, v4                                       // 000000007F68: 7E084104
	v_exp_f32_e32 v5, v5                                       // 000000007F6C: 7E0A4105
	v_exp_f32_e32 v6, v6                                       // 000000007F70: 7E0C4106
	v_exp_f32_e32 v7, v7                                       // 000000007F74: 7E0E4107
	v_add_f32_e64 v4, v4, 1.0                                  // 000000007F78: D1010004 0001E504
	v_add_f32_e64 v5, v5, 1.0                                  // 000000007F80: D1010005 0001E505
	v_add_f32_e64 v6, v6, 1.0                                  // 000000007F88: D1010006 0001E506
	v_add_f32_e64 v7, v7, 1.0                                  // 000000007F90: D1010007 0001E507
	v_rcp_f32_e32 v4, v4                                       // 000000007F98: 7E084504
	v_rcp_f32_e32 v5, v5                                       // 000000007F9C: 7E0A4505
	v_rcp_f32_e32 v6, v6                                       // 000000007FA0: 7E0C4506
	v_rcp_f32_e32 v7, v7                                       // 000000007FA4: 7E0E4507
	v_mul_f32_e32 v84, v84, v4                                 // 000000007FA8: 0AA80954
	v_mul_f32_e32 v85, v85, v5                                 // 000000007FAC: 0AAA0B55
	v_mul_f32_e32 v86, v86, v6                                 // 000000007FB0: 0AAC0D56
	v_mul_f32_e32 v87, v87, v7                                 // 000000007FB4: 0AAE0F57
	v_mul_f32_e32 v84, v84, v124                               // 000000007FB8: 0AA8F954
	v_mul_f32_e32 v85, v85, v125                               // 000000007FBC: 0AAAFB55
	v_mul_f32_e32 v86, v86, v126                               // 000000007FC0: 0AACFD56
	v_mul_f32_e32 v87, v87, v127                               // 000000007FC4: 0AAEFF57
	v_pk_mul_f32 v[4:5], v[88:89], v[88:89]                    // 000000007FC8: D3B14004 1802B158
	v_pk_mul_f32 v[6:7], v[90:91], v[90:91]                    // 000000007FD0: D3B14006 1802B55A
	v_pk_fma_f32 v[4:5], v[4:5], s[78:79], v[8:9]              // 000000007FD8: D3B04004 1C209D04
	v_pk_fma_f32 v[6:7], v[6:7], s[78:79], v[8:9]              // 000000007FE0: D3B04006 1C209D06
	v_pk_mul_f32 v[4:5], v[4:5], v[88:89]                      // 000000007FE8: D3B14004 1802B104
	v_pk_mul_f32 v[6:7], v[6:7], v[90:91]                      // 000000007FF0: D3B14006 1802B506
	v_pk_mul_f32 v[4:5], v[4:5], s[60:61]                      // 000000007FF8: D3B14004 18007904
	v_pk_mul_f32 v[6:7], v[6:7], s[60:61]                      // 000000008000: D3B14006 18007906
	v_exp_f32_e32 v4, v4                                       // 000000008008: 7E084104
	v_exp_f32_e32 v5, v5                                       // 00000000800C: 7E0A4105
	v_exp_f32_e32 v6, v6                                       // 000000008010: 7E0C4106
	v_exp_f32_e32 v7, v7                                       // 000000008014: 7E0E4107
	v_add_f32_e64 v4, v4, 1.0                                  // 000000008018: D1010004 0001E504
	v_add_f32_e64 v5, v5, 1.0                                  // 000000008020: D1010005 0001E505
	v_add_f32_e64 v6, v6, 1.0                                  // 000000008028: D1010006 0001E506
	v_add_f32_e64 v7, v7, 1.0                                  // 000000008030: D1010007 0001E507
	v_rcp_f32_e32 v4, v4                                       // 000000008038: 7E084504
	v_rcp_f32_e32 v5, v5                                       // 00000000803C: 7E0A4505
	v_rcp_f32_e32 v6, v6                                       // 000000008040: 7E0C4506
	v_rcp_f32_e32 v7, v7                                       // 000000008044: 7E0E4507
	v_mul_f32_e32 v88, v88, v4                                 // 000000008048: 0AB00958
	v_mul_f32_e32 v89, v89, v5                                 // 00000000804C: 0AB20B59
	v_mul_f32_e32 v90, v90, v6                                 // 000000008050: 0AB40D5A
	v_mul_f32_e32 v91, v91, v7                                 // 000000008054: 0AB60F5B
	v_mul_f32_e32 v88, v88, v128                               // 000000008058: 0AB10158
	v_mul_f32_e32 v89, v89, v129                               // 00000000805C: 0AB30359
	v_mul_f32_e32 v90, v90, v130                               // 000000008060: 0AB5055A
	v_mul_f32_e32 v91, v91, v131                               // 000000008064: 0AB7075B
	v_pk_mul_f32 v[4:5], v[92:93], v[92:93]                    // 000000008068: D3B14004 1802B95C
	v_pk_mul_f32 v[6:7], v[94:95], v[94:95]                    // 000000008070: D3B14006 1802BD5E
	v_pk_fma_f32 v[4:5], v[4:5], s[78:79], v[8:9]              // 000000008078: D3B04004 1C209D04
	v_pk_fma_f32 v[6:7], v[6:7], s[78:79], v[8:9]              // 000000008080: D3B04006 1C209D06
	v_pk_mul_f32 v[4:5], v[4:5], v[92:93]                      // 000000008088: D3B14004 1802B904
	v_pk_mul_f32 v[6:7], v[6:7], v[94:95]                      // 000000008090: D3B14006 1802BD06
	v_pk_mul_f32 v[4:5], v[4:5], s[60:61]                      // 000000008098: D3B14004 18007904
	v_pk_mul_f32 v[6:7], v[6:7], s[60:61]                      // 0000000080A0: D3B14006 18007906
	v_exp_f32_e32 v4, v4                                       // 0000000080A8: 7E084104
	v_exp_f32_e32 v5, v5                                       // 0000000080AC: 7E0A4105
	v_exp_f32_e32 v6, v6                                       // 0000000080B0: 7E0C4106
	v_exp_f32_e32 v7, v7                                       // 0000000080B4: 7E0E4107
	v_add_f32_e64 v4, v4, 1.0                                  // 0000000080B8: D1010004 0001E504
	v_add_f32_e64 v5, v5, 1.0                                  // 0000000080C0: D1010005 0001E505
	v_add_f32_e64 v6, v6, 1.0                                  // 0000000080C8: D1010006 0001E506
	v_add_f32_e64 v7, v7, 1.0                                  // 0000000080D0: D1010007 0001E507
	v_rcp_f32_e32 v4, v4                                       // 0000000080D8: 7E084504
	v_rcp_f32_e32 v5, v5                                       // 0000000080DC: 7E0A4505
	v_rcp_f32_e32 v6, v6                                       // 0000000080E0: 7E0C4506
	v_rcp_f32_e32 v7, v7                                       // 0000000080E4: 7E0E4507
	v_mul_f32_e32 v92, v92, v4                                 // 0000000080E8: 0AB8095C
	v_mul_f32_e32 v93, v93, v5                                 // 0000000080EC: 0ABA0B5D
	v_mul_f32_e32 v94, v94, v6                                 // 0000000080F0: 0ABC0D5E
	v_mul_f32_e32 v95, v95, v7                                 // 0000000080F4: 0ABE0F5F
	v_mul_f32_e32 v92, v92, v132                               // 0000000080F8: 0AB9095C
	v_mul_f32_e32 v93, v93, v133                               // 0000000080FC: 0ABB0B5D
	v_mul_f32_e32 v94, v94, v134                               // 000000008100: 0ABD0D5E
	v_mul_f32_e32 v95, v95, v135                               // 000000008104: 0ABF0F5F
	v_pk_mul_f32 v[4:5], v[96:97], v[96:97]                    // 000000008108: D3B14004 1802C160
	v_pk_mul_f32 v[6:7], v[98:99], v[98:99]                    // 000000008110: D3B14006 1802C562
	v_pk_fma_f32 v[4:5], v[4:5], s[78:79], v[8:9]              // 000000008118: D3B04004 1C209D04
	v_pk_fma_f32 v[6:7], v[6:7], s[78:79], v[8:9]              // 000000008120: D3B04006 1C209D06
	v_pk_mul_f32 v[4:5], v[4:5], v[96:97]                      // 000000008128: D3B14004 1802C104
	v_pk_mul_f32 v[6:7], v[6:7], v[98:99]                      // 000000008130: D3B14006 1802C506
	v_pk_mul_f32 v[4:5], v[4:5], s[60:61]                      // 000000008138: D3B14004 18007904
	v_pk_mul_f32 v[6:7], v[6:7], s[60:61]                      // 000000008140: D3B14006 18007906
	v_exp_f32_e32 v4, v4                                       // 000000008148: 7E084104
	v_exp_f32_e32 v5, v5                                       // 00000000814C: 7E0A4105
	v_exp_f32_e32 v6, v6                                       // 000000008150: 7E0C4106
	v_exp_f32_e32 v7, v7                                       // 000000008154: 7E0E4107
	v_add_f32_e64 v4, v4, 1.0                                  // 000000008158: D1010004 0001E504
	v_add_f32_e64 v5, v5, 1.0                                  // 000000008160: D1010005 0001E505
	v_add_f32_e64 v6, v6, 1.0                                  // 000000008168: D1010006 0001E506
	v_add_f32_e64 v7, v7, 1.0                                  // 000000008170: D1010007 0001E507
	v_rcp_f32_e32 v4, v4                                       // 000000008178: 7E084504
	v_rcp_f32_e32 v5, v5                                       // 00000000817C: 7E0A4505
	v_rcp_f32_e32 v6, v6                                       // 000000008180: 7E0C4506
	v_rcp_f32_e32 v7, v7                                       // 000000008184: 7E0E4507
	v_mul_f32_e32 v96, v96, v4                                 // 000000008188: 0AC00960
	v_mul_f32_e32 v97, v97, v5                                 // 00000000818C: 0AC20B61
	v_mul_f32_e32 v98, v98, v6                                 // 000000008190: 0AC40D62
	v_mul_f32_e32 v99, v99, v7                                 // 000000008194: 0AC60F63
	v_mul_f32_e32 v96, v96, v136                               // 000000008198: 0AC11160
	v_mul_f32_e32 v97, v97, v137                               // 00000000819C: 0AC31361
	v_mul_f32_e32 v98, v98, v138                               // 0000000081A0: 0AC51562
	v_mul_f32_e32 v99, v99, v139                               // 0000000081A4: 0AC71763
	s_branch label_172E                                        // 0000000081A8: BF820140

00000000000081ac <label_15EE>:
	v_mul_f32_e64 v4, -v60, s6                                 // 0000000081AC: D1050004 20000D3C
	v_mul_f32_e64 v5, -v61, s6                                 // 0000000081B4: D1050005 20000D3D
	v_mul_f32_e64 v6, -v62, s6                                 // 0000000081BC: D1050006 20000D3E
	v_mul_f32_e64 v7, -v63, s6                                 // 0000000081C4: D1050007 20000D3F
	v_exp_f32_e32 v4, v4                                       // 0000000081CC: 7E084104
	v_exp_f32_e32 v5, v5                                       // 0000000081D0: 7E0A4105
	v_exp_f32_e32 v6, v6                                       // 0000000081D4: 7E0C4106
	v_exp_f32_e32 v7, v7                                       // 0000000081D8: 7E0E4107
	v_add_f32_e64 v4, v4, 1.0                                  // 0000000081DC: D1010004 0001E504
	v_add_f32_e64 v5, v5, 1.0                                  // 0000000081E4: D1010005 0001E505
	v_add_f32_e64 v6, v6, 1.0                                  // 0000000081EC: D1010006 0001E506
	v_add_f32_e64 v7, v7, 1.0                                  // 0000000081F4: D1010007 0001E507
	v_rcp_f32_e32 v4, v4                                       // 0000000081FC: 7E084504
	v_rcp_f32_e32 v5, v5                                       // 000000008200: 7E0A4505
	v_rcp_f32_e32 v6, v6                                       // 000000008204: 7E0C4506
	v_rcp_f32_e32 v7, v7                                       // 000000008208: 7E0E4507
	v_mul_f32_e32 v60, v60, v4                                 // 00000000820C: 0A78093C
	v_mul_f32_e32 v61, v61, v5                                 // 000000008210: 0A7A0B3D
	v_mul_f32_e32 v62, v62, v6                                 // 000000008214: 0A7C0D3E
	v_mul_f32_e32 v63, v63, v7                                 // 000000008218: 0A7E0F3F
	v_mul_f32_e32 v60, v60, v100                               // 00000000821C: 0A78C93C
	v_mul_f32_e32 v61, v61, v101                               // 000000008220: 0A7ACB3D
	v_mul_f32_e32 v62, v62, v102                               // 000000008224: 0A7CCD3E
	v_mul_f32_e32 v63, v63, v103                               // 000000008228: 0A7ECF3F
	v_mul_f32_e64 v4, -v64, s6                                 // 00000000822C: D1050004 20000D40
	v_mul_f32_e64 v5, -v65, s6                                 // 000000008234: D1050005 20000D41
	v_mul_f32_e64 v6, -v66, s6                                 // 00000000823C: D1050006 20000D42
	v_mul_f32_e64 v7, -v67, s6                                 // 000000008244: D1050007 20000D43
	v_exp_f32_e32 v4, v4                                       // 00000000824C: 7E084104
	v_exp_f32_e32 v5, v5                                       // 000000008250: 7E0A4105
	v_exp_f32_e32 v6, v6                                       // 000000008254: 7E0C4106
	v_exp_f32_e32 v7, v7                                       // 000000008258: 7E0E4107
	v_add_f32_e64 v4, v4, 1.0                                  // 00000000825C: D1010004 0001E504
	v_add_f32_e64 v5, v5, 1.0                                  // 000000008264: D1010005 0001E505
	v_add_f32_e64 v6, v6, 1.0                                  // 00000000826C: D1010006 0001E506
	v_add_f32_e64 v7, v7, 1.0                                  // 000000008274: D1010007 0001E507
	v_rcp_f32_e32 v4, v4                                       // 00000000827C: 7E084504
	v_rcp_f32_e32 v5, v5                                       // 000000008280: 7E0A4505
	v_rcp_f32_e32 v6, v6                                       // 000000008284: 7E0C4506
	v_rcp_f32_e32 v7, v7                                       // 000000008288: 7E0E4507
	v_mul_f32_e32 v64, v64, v4                                 // 00000000828C: 0A800940
	v_mul_f32_e32 v65, v65, v5                                 // 000000008290: 0A820B41
	v_mul_f32_e32 v66, v66, v6                                 // 000000008294: 0A840D42
	v_mul_f32_e32 v67, v67, v7                                 // 000000008298: 0A860F43
	v_mul_f32_e32 v64, v64, v104                               // 00000000829C: 0A80D140
	v_mul_f32_e32 v65, v65, v105                               // 0000000082A0: 0A82D341
	v_mul_f32_e32 v66, v66, v106                               // 0000000082A4: 0A84D542
	v_mul_f32_e32 v67, v67, v107                               // 0000000082A8: 0A86D743
	v_mul_f32_e64 v4, -v68, s6                                 // 0000000082AC: D1050004 20000D44
	v_mul_f32_e64 v5, -v69, s6                                 // 0000000082B4: D1050005 20000D45
	v_mul_f32_e64 v6, -v70, s6                                 // 0000000082BC: D1050006 20000D46
	v_mul_f32_e64 v7, -v71, s6                                 // 0000000082C4: D1050007 20000D47
	v_exp_f32_e32 v4, v4                                       // 0000000082CC: 7E084104
	v_exp_f32_e32 v5, v5                                       // 0000000082D0: 7E0A4105
	v_exp_f32_e32 v6, v6                                       // 0000000082D4: 7E0C4106
	v_exp_f32_e32 v7, v7                                       // 0000000082D8: 7E0E4107
	v_add_f32_e64 v4, v4, 1.0                                  // 0000000082DC: D1010004 0001E504
	v_add_f32_e64 v5, v5, 1.0                                  // 0000000082E4: D1010005 0001E505
	v_add_f32_e64 v6, v6, 1.0                                  // 0000000082EC: D1010006 0001E506
	v_add_f32_e64 v7, v7, 1.0                                  // 0000000082F4: D1010007 0001E507
	v_rcp_f32_e32 v4, v4                                       // 0000000082FC: 7E084504
	v_rcp_f32_e32 v5, v5                                       // 000000008300: 7E0A4505
	v_rcp_f32_e32 v6, v6                                       // 000000008304: 7E0C4506
	v_rcp_f32_e32 v7, v7                                       // 000000008308: 7E0E4507
	v_mul_f32_e32 v68, v68, v4                                 // 00000000830C: 0A880944
	v_mul_f32_e32 v69, v69, v5                                 // 000000008310: 0A8A0B45
	v_mul_f32_e32 v70, v70, v6                                 // 000000008314: 0A8C0D46
	v_mul_f32_e32 v71, v71, v7                                 // 000000008318: 0A8E0F47
	v_mul_f32_e32 v68, v68, v108                               // 00000000831C: 0A88D944
	v_mul_f32_e32 v69, v69, v109                               // 000000008320: 0A8ADB45
	v_mul_f32_e32 v70, v70, v110                               // 000000008324: 0A8CDD46
	v_mul_f32_e32 v71, v71, v111                               // 000000008328: 0A8EDF47
	v_mul_f32_e64 v4, -v72, s6                                 // 00000000832C: D1050004 20000D48
	v_mul_f32_e64 v5, -v73, s6                                 // 000000008334: D1050005 20000D49
	v_mul_f32_e64 v6, -v74, s6                                 // 00000000833C: D1050006 20000D4A
	v_mul_f32_e64 v7, -v75, s6                                 // 000000008344: D1050007 20000D4B
	v_exp_f32_e32 v4, v4                                       // 00000000834C: 7E084104
	v_exp_f32_e32 v5, v5                                       // 000000008350: 7E0A4105
	v_exp_f32_e32 v6, v6                                       // 000000008354: 7E0C4106
	v_exp_f32_e32 v7, v7                                       // 000000008358: 7E0E4107
	v_add_f32_e64 v4, v4, 1.0                                  // 00000000835C: D1010004 0001E504
	v_add_f32_e64 v5, v5, 1.0                                  // 000000008364: D1010005 0001E505
	v_add_f32_e64 v6, v6, 1.0                                  // 00000000836C: D1010006 0001E506
	v_add_f32_e64 v7, v7, 1.0                                  // 000000008374: D1010007 0001E507
	v_rcp_f32_e32 v4, v4                                       // 00000000837C: 7E084504
	v_rcp_f32_e32 v5, v5                                       // 000000008380: 7E0A4505
	v_rcp_f32_e32 v6, v6                                       // 000000008384: 7E0C4506
	v_rcp_f32_e32 v7, v7                                       // 000000008388: 7E0E4507
	v_mul_f32_e32 v72, v72, v4                                 // 00000000838C: 0A900948
	v_mul_f32_e32 v73, v73, v5                                 // 000000008390: 0A920B49
	v_mul_f32_e32 v74, v74, v6                                 // 000000008394: 0A940D4A
	v_mul_f32_e32 v75, v75, v7                                 // 000000008398: 0A960F4B
	v_mul_f32_e32 v72, v72, v112                               // 00000000839C: 0A90E148
	v_mul_f32_e32 v73, v73, v113                               // 0000000083A0: 0A92E349
	v_mul_f32_e32 v74, v74, v114                               // 0000000083A4: 0A94E54A
	v_mul_f32_e32 v75, v75, v115                               // 0000000083A8: 0A96E74B
	v_mul_f32_e64 v4, -v76, s6                                 // 0000000083AC: D1050004 20000D4C
	v_mul_f32_e64 v5, -v77, s6                                 // 0000000083B4: D1050005 20000D4D
	v_mul_f32_e64 v6, -v78, s6                                 // 0000000083BC: D1050006 20000D4E
	v_mul_f32_e64 v7, -v79, s6                                 // 0000000083C4: D1050007 20000D4F
	v_exp_f32_e32 v4, v4                                       // 0000000083CC: 7E084104
	v_exp_f32_e32 v5, v5                                       // 0000000083D0: 7E0A4105
	v_exp_f32_e32 v6, v6                                       // 0000000083D4: 7E0C4106
	v_exp_f32_e32 v7, v7                                       // 0000000083D8: 7E0E4107
	v_add_f32_e64 v4, v4, 1.0                                  // 0000000083DC: D1010004 0001E504
	v_add_f32_e64 v5, v5, 1.0                                  // 0000000083E4: D1010005 0001E505
	v_add_f32_e64 v6, v6, 1.0                                  // 0000000083EC: D1010006 0001E506
	v_add_f32_e64 v7, v7, 1.0                                  // 0000000083F4: D1010007 0001E507
	v_rcp_f32_e32 v4, v4                                       // 0000000083FC: 7E084504
	v_rcp_f32_e32 v5, v5                                       // 000000008400: 7E0A4505
	v_rcp_f32_e32 v6, v6                                       // 000000008404: 7E0C4506
	v_rcp_f32_e32 v7, v7                                       // 000000008408: 7E0E4507
	v_mul_f32_e32 v76, v76, v4                                 // 00000000840C: 0A98094C
	v_mul_f32_e32 v77, v77, v5                                 // 000000008410: 0A9A0B4D
	v_mul_f32_e32 v78, v78, v6                                 // 000000008414: 0A9C0D4E
	v_mul_f32_e32 v79, v79, v7                                 // 000000008418: 0A9E0F4F
	v_mul_f32_e32 v76, v76, v116                               // 00000000841C: 0A98E94C
	v_mul_f32_e32 v77, v77, v117                               // 000000008420: 0A9AEB4D
	v_mul_f32_e32 v78, v78, v118                               // 000000008424: 0A9CED4E
	v_mul_f32_e32 v79, v79, v119                               // 000000008428: 0A9EEF4F
	v_mul_f32_e64 v4, -v80, s6                                 // 00000000842C: D1050004 20000D50
	v_mul_f32_e64 v5, -v81, s6                                 // 000000008434: D1050005 20000D51
	v_mul_f32_e64 v6, -v82, s6                                 // 00000000843C: D1050006 20000D52
	v_mul_f32_e64 v7, -v83, s6                                 // 000000008444: D1050007 20000D53
	v_exp_f32_e32 v4, v4                                       // 00000000844C: 7E084104
	v_exp_f32_e32 v5, v5                                       // 000000008450: 7E0A4105
	v_exp_f32_e32 v6, v6                                       // 000000008454: 7E0C4106
	v_exp_f32_e32 v7, v7                                       // 000000008458: 7E0E4107
	v_add_f32_e64 v4, v4, 1.0                                  // 00000000845C: D1010004 0001E504
	v_add_f32_e64 v5, v5, 1.0                                  // 000000008464: D1010005 0001E505
	v_add_f32_e64 v6, v6, 1.0                                  // 00000000846C: D1010006 0001E506
	v_add_f32_e64 v7, v7, 1.0                                  // 000000008474: D1010007 0001E507
	v_rcp_f32_e32 v4, v4                                       // 00000000847C: 7E084504
	v_rcp_f32_e32 v5, v5                                       // 000000008480: 7E0A4505
	v_rcp_f32_e32 v6, v6                                       // 000000008484: 7E0C4506
	v_rcp_f32_e32 v7, v7                                       // 000000008488: 7E0E4507
	v_mul_f32_e32 v80, v80, v4                                 // 00000000848C: 0AA00950
	v_mul_f32_e32 v81, v81, v5                                 // 000000008490: 0AA20B51
	v_mul_f32_e32 v82, v82, v6                                 // 000000008494: 0AA40D52
	v_mul_f32_e32 v83, v83, v7                                 // 000000008498: 0AA60F53
	v_mul_f32_e32 v80, v80, v120                               // 00000000849C: 0AA0F150
	v_mul_f32_e32 v81, v81, v121                               // 0000000084A0: 0AA2F351
	v_mul_f32_e32 v82, v82, v122                               // 0000000084A4: 0AA4F552
	v_mul_f32_e32 v83, v83, v123                               // 0000000084A8: 0AA6F753
	v_mul_f32_e64 v4, -v84, s6                                 // 0000000084AC: D1050004 20000D54
	v_mul_f32_e64 v5, -v85, s6                                 // 0000000084B4: D1050005 20000D55
	v_mul_f32_e64 v6, -v86, s6                                 // 0000000084BC: D1050006 20000D56
	v_mul_f32_e64 v7, -v87, s6                                 // 0000000084C4: D1050007 20000D57
	v_exp_f32_e32 v4, v4                                       // 0000000084CC: 7E084104
	v_exp_f32_e32 v5, v5                                       // 0000000084D0: 7E0A4105
	v_exp_f32_e32 v6, v6                                       // 0000000084D4: 7E0C4106
	v_exp_f32_e32 v7, v7                                       // 0000000084D8: 7E0E4107
	v_add_f32_e64 v4, v4, 1.0                                  // 0000000084DC: D1010004 0001E504
	v_add_f32_e64 v5, v5, 1.0                                  // 0000000084E4: D1010005 0001E505
	v_add_f32_e64 v6, v6, 1.0                                  // 0000000084EC: D1010006 0001E506
	v_add_f32_e64 v7, v7, 1.0                                  // 0000000084F4: D1010007 0001E507
	v_rcp_f32_e32 v4, v4                                       // 0000000084FC: 7E084504
	v_rcp_f32_e32 v5, v5                                       // 000000008500: 7E0A4505
	v_rcp_f32_e32 v6, v6                                       // 000000008504: 7E0C4506
	v_rcp_f32_e32 v7, v7                                       // 000000008508: 7E0E4507
	v_mul_f32_e32 v84, v84, v4                                 // 00000000850C: 0AA80954
	v_mul_f32_e32 v85, v85, v5                                 // 000000008510: 0AAA0B55
	v_mul_f32_e32 v86, v86, v6                                 // 000000008514: 0AAC0D56
	v_mul_f32_e32 v87, v87, v7                                 // 000000008518: 0AAE0F57
	v_mul_f32_e32 v84, v84, v124                               // 00000000851C: 0AA8F954
	v_mul_f32_e32 v85, v85, v125                               // 000000008520: 0AAAFB55
	v_mul_f32_e32 v86, v86, v126                               // 000000008524: 0AACFD56
	v_mul_f32_e32 v87, v87, v127                               // 000000008528: 0AAEFF57
	v_mul_f32_e64 v4, -v88, s6                                 // 00000000852C: D1050004 20000D58
	v_mul_f32_e64 v5, -v89, s6                                 // 000000008534: D1050005 20000D59
	v_mul_f32_e64 v6, -v90, s6                                 // 00000000853C: D1050006 20000D5A
	v_mul_f32_e64 v7, -v91, s6                                 // 000000008544: D1050007 20000D5B
	v_exp_f32_e32 v4, v4                                       // 00000000854C: 7E084104
	v_exp_f32_e32 v5, v5                                       // 000000008550: 7E0A4105
	v_exp_f32_e32 v6, v6                                       // 000000008554: 7E0C4106
	v_exp_f32_e32 v7, v7                                       // 000000008558: 7E0E4107
	v_add_f32_e64 v4, v4, 1.0                                  // 00000000855C: D1010004 0001E504
	v_add_f32_e64 v5, v5, 1.0                                  // 000000008564: D1010005 0001E505
	v_add_f32_e64 v6, v6, 1.0                                  // 00000000856C: D1010006 0001E506
	v_add_f32_e64 v7, v7, 1.0                                  // 000000008574: D1010007 0001E507
	v_rcp_f32_e32 v4, v4                                       // 00000000857C: 7E084504
	v_rcp_f32_e32 v5, v5                                       // 000000008580: 7E0A4505
	v_rcp_f32_e32 v6, v6                                       // 000000008584: 7E0C4506
	v_rcp_f32_e32 v7, v7                                       // 000000008588: 7E0E4507
	v_mul_f32_e32 v88, v88, v4                                 // 00000000858C: 0AB00958
	v_mul_f32_e32 v89, v89, v5                                 // 000000008590: 0AB20B59
	v_mul_f32_e32 v90, v90, v6                                 // 000000008594: 0AB40D5A
	v_mul_f32_e32 v91, v91, v7                                 // 000000008598: 0AB60F5B
	v_mul_f32_e32 v88, v88, v128                               // 00000000859C: 0AB10158
	v_mul_f32_e32 v89, v89, v129                               // 0000000085A0: 0AB30359
	v_mul_f32_e32 v90, v90, v130                               // 0000000085A4: 0AB5055A
	v_mul_f32_e32 v91, v91, v131                               // 0000000085A8: 0AB7075B
	v_mul_f32_e64 v4, -v92, s6                                 // 0000000085AC: D1050004 20000D5C
	v_mul_f32_e64 v5, -v93, s6                                 // 0000000085B4: D1050005 20000D5D
	v_mul_f32_e64 v6, -v94, s6                                 // 0000000085BC: D1050006 20000D5E
	v_mul_f32_e64 v7, -v95, s6                                 // 0000000085C4: D1050007 20000D5F
	v_exp_f32_e32 v4, v4                                       // 0000000085CC: 7E084104
	v_exp_f32_e32 v5, v5                                       // 0000000085D0: 7E0A4105
	v_exp_f32_e32 v6, v6                                       // 0000000085D4: 7E0C4106
	v_exp_f32_e32 v7, v7                                       // 0000000085D8: 7E0E4107
	v_add_f32_e64 v4, v4, 1.0                                  // 0000000085DC: D1010004 0001E504
	v_add_f32_e64 v5, v5, 1.0                                  // 0000000085E4: D1010005 0001E505
	v_add_f32_e64 v6, v6, 1.0                                  // 0000000085EC: D1010006 0001E506
	v_add_f32_e64 v7, v7, 1.0                                  // 0000000085F4: D1010007 0001E507
	v_rcp_f32_e32 v4, v4                                       // 0000000085FC: 7E084504
	v_rcp_f32_e32 v5, v5                                       // 000000008600: 7E0A4505
	v_rcp_f32_e32 v6, v6                                       // 000000008604: 7E0C4506
	v_rcp_f32_e32 v7, v7                                       // 000000008608: 7E0E4507
	v_mul_f32_e32 v92, v92, v4                                 // 00000000860C: 0AB8095C
	v_mul_f32_e32 v93, v93, v5                                 // 000000008610: 0ABA0B5D
	v_mul_f32_e32 v94, v94, v6                                 // 000000008614: 0ABC0D5E
	v_mul_f32_e32 v95, v95, v7                                 // 000000008618: 0ABE0F5F
	v_mul_f32_e32 v92, v92, v132                               // 00000000861C: 0AB9095C
	v_mul_f32_e32 v93, v93, v133                               // 000000008620: 0ABB0B5D
	v_mul_f32_e32 v94, v94, v134                               // 000000008624: 0ABD0D5E
	v_mul_f32_e32 v95, v95, v135                               // 000000008628: 0ABF0F5F
	v_mul_f32_e64 v4, -v96, s6                                 // 00000000862C: D1050004 20000D60
	v_mul_f32_e64 v5, -v97, s6                                 // 000000008634: D1050005 20000D61
	v_mul_f32_e64 v6, -v98, s6                                 // 00000000863C: D1050006 20000D62
	v_mul_f32_e64 v7, -v99, s6                                 // 000000008644: D1050007 20000D63
	v_exp_f32_e32 v4, v4                                       // 00000000864C: 7E084104
	v_exp_f32_e32 v5, v5                                       // 000000008650: 7E0A4105
	v_exp_f32_e32 v6, v6                                       // 000000008654: 7E0C4106
	v_exp_f32_e32 v7, v7                                       // 000000008658: 7E0E4107
	v_add_f32_e64 v4, v4, 1.0                                  // 00000000865C: D1010004 0001E504
	v_add_f32_e64 v5, v5, 1.0                                  // 000000008664: D1010005 0001E505
	v_add_f32_e64 v6, v6, 1.0                                  // 00000000866C: D1010006 0001E506
	v_add_f32_e64 v7, v7, 1.0                                  // 000000008674: D1010007 0001E507
	v_rcp_f32_e32 v4, v4                                       // 00000000867C: 7E084504
	v_rcp_f32_e32 v5, v5                                       // 000000008680: 7E0A4505
	v_rcp_f32_e32 v6, v6                                       // 000000008684: 7E0C4506
	v_rcp_f32_e32 v7, v7                                       // 000000008688: 7E0E4507
	v_mul_f32_e32 v96, v96, v4                                 // 00000000868C: 0AC00960
	v_mul_f32_e32 v97, v97, v5                                 // 000000008690: 0AC20B61
	v_mul_f32_e32 v98, v98, v6                                 // 000000008694: 0AC40D62
	v_mul_f32_e32 v99, v99, v7                                 // 000000008698: 0AC60F63
	v_mul_f32_e32 v96, v96, v136                               // 00000000869C: 0AC11160
	v_mul_f32_e32 v97, v97, v137                               // 0000000086A0: 0AC31361
	v_mul_f32_e32 v98, v98, v138                               // 0000000086A4: 0AC51562
	v_mul_f32_e32 v99, v99, v139                               // 0000000086A8: 0AC71763

00000000000086ac <label_172E>:
	v_cmp_u_f32_e64 s[46:47], v60, v60                         // 0000000086AC: D048002E 0002793C
	v_add3_u32 v16, v60, v19, 1                                // 0000000086B4: D1FF0010 0206273C
	v_cndmask_b32_e64 v4, v16, v18, s[46:47]                   // 0000000086BC: D1000004 00BA2510
	v_cmp_u_f32_e64 s[46:47], v61, v61                         // 0000000086C4: D048002E 00027B3D
	v_add3_u32 v16, v61, v19, 1                                // 0000000086CC: D1FF0010 0206273D
	v_cndmask_b32_e64 v5, v16, v18, s[46:47]                   // 0000000086D4: D1000005 00BA2510
	v_perm_b32 v60, v5, v4, s52                                // 0000000086DC: D1ED003C 00D20905
	v_cmp_u_f32_e64 s[46:47], v62, v62                         // 0000000086E4: D048002E 00027D3E
	v_add3_u32 v16, v62, v19, 1                                // 0000000086EC: D1FF0010 0206273E
	v_cndmask_b32_e64 v4, v16, v18, s[46:47]                   // 0000000086F4: D1000004 00BA2510
	v_cmp_u_f32_e64 s[46:47], v63, v63                         // 0000000086FC: D048002E 00027F3F
	v_add3_u32 v16, v63, v19, 1                                // 000000008704: D1FF0010 0206273F
	v_cndmask_b32_e64 v5, v16, v18, s[46:47]                   // 00000000870C: D1000005 00BA2510
	v_perm_b32 v61, v5, v4, s52                                // 000000008714: D1ED003D 00D20905
	v_cmp_u_f32_e64 s[46:47], v64, v64                         // 00000000871C: D048002E 00028140
	v_add3_u32 v16, v64, v19, 1                                // 000000008724: D1FF0010 02062740
	v_cndmask_b32_e64 v4, v16, v18, s[46:47]                   // 00000000872C: D1000004 00BA2510
	v_cmp_u_f32_e64 s[46:47], v65, v65                         // 000000008734: D048002E 00028341
	v_add3_u32 v16, v65, v19, 1                                // 00000000873C: D1FF0010 02062741
	v_cndmask_b32_e64 v5, v16, v18, s[46:47]                   // 000000008744: D1000005 00BA2510
	v_perm_b32 v62, v5, v4, s52                                // 00000000874C: D1ED003E 00D20905
	v_cmp_u_f32_e64 s[46:47], v66, v66                         // 000000008754: D048002E 00028542
	v_add3_u32 v16, v66, v19, 1                                // 00000000875C: D1FF0010 02062742
	v_cndmask_b32_e64 v4, v16, v18, s[46:47]                   // 000000008764: D1000004 00BA2510
	v_cmp_u_f32_e64 s[46:47], v67, v67                         // 00000000876C: D048002E 00028743
	v_add3_u32 v16, v67, v19, 1                                // 000000008774: D1FF0010 02062743
	v_cndmask_b32_e64 v5, v16, v18, s[46:47]                   // 00000000877C: D1000005 00BA2510
	v_perm_b32 v63, v5, v4, s52                                // 000000008784: D1ED003F 00D20905
	v_cmp_u_f32_e64 s[46:47], v68, v68                         // 00000000878C: D048002E 00028944
	v_add3_u32 v16, v68, v19, 1                                // 000000008794: D1FF0010 02062744
	v_cndmask_b32_e64 v4, v16, v18, s[46:47]                   // 00000000879C: D1000004 00BA2510
	v_cmp_u_f32_e64 s[46:47], v69, v69                         // 0000000087A4: D048002E 00028B45
	v_add3_u32 v16, v69, v19, 1                                // 0000000087AC: D1FF0010 02062745
	v_cndmask_b32_e64 v5, v16, v18, s[46:47]                   // 0000000087B4: D1000005 00BA2510
	v_perm_b32 v64, v5, v4, s52                                // 0000000087BC: D1ED0040 00D20905
	v_cmp_u_f32_e64 s[46:47], v70, v70                         // 0000000087C4: D048002E 00028D46
	v_add3_u32 v16, v70, v19, 1                                // 0000000087CC: D1FF0010 02062746
	v_cndmask_b32_e64 v4, v16, v18, s[46:47]                   // 0000000087D4: D1000004 00BA2510
	v_cmp_u_f32_e64 s[46:47], v71, v71                         // 0000000087DC: D048002E 00028F47
	v_add3_u32 v16, v71, v19, 1                                // 0000000087E4: D1FF0010 02062747
	v_cndmask_b32_e64 v5, v16, v18, s[46:47]                   // 0000000087EC: D1000005 00BA2510
	v_perm_b32 v65, v5, v4, s52                                // 0000000087F4: D1ED0041 00D20905
	v_cmp_u_f32_e64 s[46:47], v72, v72                         // 0000000087FC: D048002E 00029148
	v_add3_u32 v16, v72, v19, 1                                // 000000008804: D1FF0010 02062748
	v_cndmask_b32_e64 v4, v16, v18, s[46:47]                   // 00000000880C: D1000004 00BA2510
	v_cmp_u_f32_e64 s[46:47], v73, v73                         // 000000008814: D048002E 00029349
	v_add3_u32 v16, v73, v19, 1                                // 00000000881C: D1FF0010 02062749
	v_cndmask_b32_e64 v5, v16, v18, s[46:47]                   // 000000008824: D1000005 00BA2510
	v_perm_b32 v66, v5, v4, s52                                // 00000000882C: D1ED0042 00D20905
	v_cmp_u_f32_e64 s[46:47], v74, v74                         // 000000008834: D048002E 0002954A
	v_add3_u32 v16, v74, v19, 1                                // 00000000883C: D1FF0010 0206274A
	v_cndmask_b32_e64 v4, v16, v18, s[46:47]                   // 000000008844: D1000004 00BA2510
	v_cmp_u_f32_e64 s[46:47], v75, v75                         // 00000000884C: D048002E 0002974B
	v_add3_u32 v16, v75, v19, 1                                // 000000008854: D1FF0010 0206274B
	v_cndmask_b32_e64 v5, v16, v18, s[46:47]                   // 00000000885C: D1000005 00BA2510
	v_perm_b32 v67, v5, v4, s52                                // 000000008864: D1ED0043 00D20905
	v_cmp_u_f32_e64 s[46:47], v76, v76                         // 00000000886C: D048002E 0002994C
	v_add3_u32 v16, v76, v19, 1                                // 000000008874: D1FF0010 0206274C
	v_cndmask_b32_e64 v4, v16, v18, s[46:47]                   // 00000000887C: D1000004 00BA2510
	v_cmp_u_f32_e64 s[46:47], v77, v77                         // 000000008884: D048002E 00029B4D
	v_add3_u32 v16, v77, v19, 1                                // 00000000888C: D1FF0010 0206274D
	v_cndmask_b32_e64 v5, v16, v18, s[46:47]                   // 000000008894: D1000005 00BA2510
	v_perm_b32 v68, v5, v4, s52                                // 00000000889C: D1ED0044 00D20905
	v_cmp_u_f32_e64 s[46:47], v78, v78                         // 0000000088A4: D048002E 00029D4E
	v_add3_u32 v16, v78, v19, 1                                // 0000000088AC: D1FF0010 0206274E
	v_cndmask_b32_e64 v4, v16, v18, s[46:47]                   // 0000000088B4: D1000004 00BA2510
	v_cmp_u_f32_e64 s[46:47], v79, v79                         // 0000000088BC: D048002E 00029F4F
	v_add3_u32 v16, v79, v19, 1                                // 0000000088C4: D1FF0010 0206274F
	v_cndmask_b32_e64 v5, v16, v18, s[46:47]                   // 0000000088CC: D1000005 00BA2510
	v_perm_b32 v69, v5, v4, s52                                // 0000000088D4: D1ED0045 00D20905
	v_cmp_u_f32_e64 s[46:47], v80, v80                         // 0000000088DC: D048002E 0002A150
	v_add3_u32 v16, v80, v19, 1                                // 0000000088E4: D1FF0010 02062750
	v_cndmask_b32_e64 v4, v16, v18, s[46:47]                   // 0000000088EC: D1000004 00BA2510
	v_cmp_u_f32_e64 s[46:47], v81, v81                         // 0000000088F4: D048002E 0002A351
	v_add3_u32 v16, v81, v19, 1                                // 0000000088FC: D1FF0010 02062751
	v_cndmask_b32_e64 v5, v16, v18, s[46:47]                   // 000000008904: D1000005 00BA2510
	v_perm_b32 v70, v5, v4, s52                                // 00000000890C: D1ED0046 00D20905
	v_cmp_u_f32_e64 s[46:47], v82, v82                         // 000000008914: D048002E 0002A552
	v_add3_u32 v16, v82, v19, 1                                // 00000000891C: D1FF0010 02062752
	v_cndmask_b32_e64 v4, v16, v18, s[46:47]                   // 000000008924: D1000004 00BA2510
	v_cmp_u_f32_e64 s[46:47], v83, v83                         // 00000000892C: D048002E 0002A753
	v_add3_u32 v16, v83, v19, 1                                // 000000008934: D1FF0010 02062753
	v_cndmask_b32_e64 v5, v16, v18, s[46:47]                   // 00000000893C: D1000005 00BA2510
	v_perm_b32 v71, v5, v4, s52                                // 000000008944: D1ED0047 00D20905
	v_cmp_u_f32_e64 s[46:47], v84, v84                         // 00000000894C: D048002E 0002A954
	v_add3_u32 v16, v84, v19, 1                                // 000000008954: D1FF0010 02062754
	v_cndmask_b32_e64 v4, v16, v18, s[46:47]                   // 00000000895C: D1000004 00BA2510
	v_cmp_u_f32_e64 s[46:47], v85, v85                         // 000000008964: D048002E 0002AB55
	v_add3_u32 v16, v85, v19, 1                                // 00000000896C: D1FF0010 02062755
	v_cndmask_b32_e64 v5, v16, v18, s[46:47]                   // 000000008974: D1000005 00BA2510
	v_perm_b32 v72, v5, v4, s52                                // 00000000897C: D1ED0048 00D20905
	v_cmp_u_f32_e64 s[46:47], v86, v86                         // 000000008984: D048002E 0002AD56
	v_add3_u32 v16, v86, v19, 1                                // 00000000898C: D1FF0010 02062756
	v_cndmask_b32_e64 v4, v16, v18, s[46:47]                   // 000000008994: D1000004 00BA2510
	v_cmp_u_f32_e64 s[46:47], v87, v87                         // 00000000899C: D048002E 0002AF57
	v_add3_u32 v16, v87, v19, 1                                // 0000000089A4: D1FF0010 02062757
	v_cndmask_b32_e64 v5, v16, v18, s[46:47]                   // 0000000089AC: D1000005 00BA2510
	v_perm_b32 v73, v5, v4, s52                                // 0000000089B4: D1ED0049 00D20905
	v_cmp_u_f32_e64 s[46:47], v88, v88                         // 0000000089BC: D048002E 0002B158
	v_add3_u32 v16, v88, v19, 1                                // 0000000089C4: D1FF0010 02062758
	v_cndmask_b32_e64 v4, v16, v18, s[46:47]                   // 0000000089CC: D1000004 00BA2510
	v_cmp_u_f32_e64 s[46:47], v89, v89                         // 0000000089D4: D048002E 0002B359
	v_add3_u32 v16, v89, v19, 1                                // 0000000089DC: D1FF0010 02062759
	v_cndmask_b32_e64 v5, v16, v18, s[46:47]                   // 0000000089E4: D1000005 00BA2510
	v_perm_b32 v74, v5, v4, s52                                // 0000000089EC: D1ED004A 00D20905
	v_cmp_u_f32_e64 s[46:47], v90, v90                         // 0000000089F4: D048002E 0002B55A
	v_add3_u32 v16, v90, v19, 1                                // 0000000089FC: D1FF0010 0206275A
	v_cndmask_b32_e64 v4, v16, v18, s[46:47]                   // 000000008A04: D1000004 00BA2510
	v_cmp_u_f32_e64 s[46:47], v91, v91                         // 000000008A0C: D048002E 0002B75B
	v_add3_u32 v16, v91, v19, 1                                // 000000008A14: D1FF0010 0206275B
	v_cndmask_b32_e64 v5, v16, v18, s[46:47]                   // 000000008A1C: D1000005 00BA2510
	v_perm_b32 v75, v5, v4, s52                                // 000000008A24: D1ED004B 00D20905
	v_cmp_u_f32_e64 s[46:47], v92, v92                         // 000000008A2C: D048002E 0002B95C
	v_add3_u32 v16, v92, v19, 1                                // 000000008A34: D1FF0010 0206275C
	v_cndmask_b32_e64 v4, v16, v18, s[46:47]                   // 000000008A3C: D1000004 00BA2510
	v_cmp_u_f32_e64 s[46:47], v93, v93                         // 000000008A44: D048002E 0002BB5D
	v_add3_u32 v16, v93, v19, 1                                // 000000008A4C: D1FF0010 0206275D
	v_cndmask_b32_e64 v5, v16, v18, s[46:47]                   // 000000008A54: D1000005 00BA2510
	v_perm_b32 v76, v5, v4, s52                                // 000000008A5C: D1ED004C 00D20905
	v_cmp_u_f32_e64 s[46:47], v94, v94                         // 000000008A64: D048002E 0002BD5E
	v_add3_u32 v16, v94, v19, 1                                // 000000008A6C: D1FF0010 0206275E
	v_cndmask_b32_e64 v4, v16, v18, s[46:47]                   // 000000008A74: D1000004 00BA2510
	v_cmp_u_f32_e64 s[46:47], v95, v95                         // 000000008A7C: D048002E 0002BF5F
	v_add3_u32 v16, v95, v19, 1                                // 000000008A84: D1FF0010 0206275F
	v_cndmask_b32_e64 v5, v16, v18, s[46:47]                   // 000000008A8C: D1000005 00BA2510
	v_perm_b32 v77, v5, v4, s52                                // 000000008A94: D1ED004D 00D20905
	v_cmp_u_f32_e64 s[46:47], v96, v96                         // 000000008A9C: D048002E 0002C160
	v_add3_u32 v16, v96, v19, 1                                // 000000008AA4: D1FF0010 02062760
	v_cndmask_b32_e64 v4, v16, v18, s[46:47]                   // 000000008AAC: D1000004 00BA2510
	v_cmp_u_f32_e64 s[46:47], v97, v97                         // 000000008AB4: D048002E 0002C361
	v_add3_u32 v16, v97, v19, 1                                // 000000008ABC: D1FF0010 02062761
	v_cndmask_b32_e64 v5, v16, v18, s[46:47]                   // 000000008AC4: D1000005 00BA2510
	v_perm_b32 v78, v5, v4, s52                                // 000000008ACC: D1ED004E 00D20905
	v_cmp_u_f32_e64 s[46:47], v98, v98                         // 000000008AD4: D048002E 0002C562
	v_add3_u32 v16, v98, v19, 1                                // 000000008ADC: D1FF0010 02062762
	v_cndmask_b32_e64 v4, v16, v18, s[46:47]                   // 000000008AE4: D1000004 00BA2510
	v_cmp_u_f32_e64 s[46:47], v99, v99                         // 000000008AEC: D048002E 0002C763
	v_add3_u32 v16, v99, v19, 1                                // 000000008AF4: D1FF0010 02062763
	v_cndmask_b32_e64 v5, v16, v18, s[46:47]                   // 000000008AFC: D1000005 00BA2510
	v_perm_b32 v79, v5, v4, s52                                // 000000008B04: D1ED004F 00D20905
	ds_write_b64 v20, v[60:61]                                 // 000000008B0C: D89A0000 00003C14
	ds_write_b64 v20, v[62:63] offset:4352                     // 000000008B14: D89A1100 00003E14
	ds_write_b64 v20, v[64:65] offset:8704                     // 000000008B1C: D89A2200 00004014
	ds_write_b64 v20, v[66:67] offset:13056                    // 000000008B24: D89A3300 00004214
	ds_write_b64 v20, v[68:69] offset:17408                    // 000000008B2C: D89A4400 00004414
	ds_write_b64 v20, v[70:71] offset:2176                     // 000000008B34: D89A0880 00004614
	ds_write_b64 v20, v[72:73] offset:6528                     // 000000008B3C: D89A1980 00004814
	ds_write_b64 v20, v[74:75] offset:10880                    // 000000008B44: D89A2A80 00004A14
	ds_write_b64 v20, v[76:77] offset:15232                    // 000000008B4C: D89A3B80 00004C14
	ds_write_b64 v20, v[78:79] offset:19584                    // 000000008B54: D89A4C80 00004E14
	v_lshrrev_b32_e32 v4, 5, v0                                // 000000008B5C: 20080085
	v_xor_b32_e32 v5, 1, v4                                    // 000000008B60: 2A0A0881
	s_mul_i32 s60, s65, 2                                      // 000000008B64: 923C8241
	s_cmp_eq_u32 s88, 0                                        // 000000008B68: BF068058
	s_cselect_b32 s61, 1, 4                                    // 000000008B6C: 853D8481
	s_mul_i32 s60, s61, s60                                    // 000000008B70: 923C3C3D
	v_readlane_b32 s82, v3, 0                                  // 000000008B74: D2890052 00010103
	s_lshr_b32 s61, s82, 24                                    // 000000008B7C: 8F3D9852
	s_and_b32 s82, s82, 0xffffff                               // 000000008B80: 8652FF52 00FFFFFF
	s_mul_i32 s82, s82, s71                                    // 000000008B88: 92524752
	s_mul_i32 s61, s60, s61                                    // 000000008B8C: 923D3D3C
	s_add_u32 s82, s82, s61                                    // 000000008B90: 80523D52
	v_mul_lo_u32 v6, v5, s82                                   // 000000008B94: D2850006 0000A505
	v_readlane_b32 s82, v3, 1                                  // 000000008B9C: D2890052 00010303
	s_lshr_b32 s61, s82, 24                                    // 000000008BA4: 8F3D9852
	s_and_b32 s82, s82, 0xffffff                               // 000000008BA8: 8652FF52 00FFFFFF
	s_mul_i32 s82, s82, s71                                    // 000000008BB0: 92524752
	s_mul_i32 s61, s60, s61                                    // 000000008BB4: 923D3D3C
	s_add_u32 s82, s82, s61                                    // 000000008BB8: 80523D52
	v_mul_lo_u32 v7, v4, s82                                   // 000000008BBC: D2850007 0000A504
	v_add_u32_e32 v48, v6, v7                                  // 000000008BC4: 68600F06
	v_readlane_b32 s82, v3, 2                                  // 000000008BC8: D2890052 00010503
	s_lshr_b32 s61, s82, 24                                    // 000000008BD0: 8F3D9852
	s_and_b32 s82, s82, 0xffffff                               // 000000008BD4: 8652FF52 00FFFFFF
	s_mul_i32 s82, s82, s71                                    // 000000008BDC: 92524752
	s_mul_i32 s61, s60, s61                                    // 000000008BE0: 923D3D3C
	s_add_u32 s82, s82, s61                                    // 000000008BE4: 80523D52
	v_mul_lo_u32 v6, v5, s82                                   // 000000008BE8: D2850006 0000A505
	v_readlane_b32 s82, v3, 3                                  // 000000008BF0: D2890052 00010703
	s_lshr_b32 s61, s82, 24                                    // 000000008BF8: 8F3D9852
	s_and_b32 s82, s82, 0xffffff                               // 000000008BFC: 8652FF52 00FFFFFF
	s_mul_i32 s82, s82, s71                                    // 000000008C04: 92524752
	s_mul_i32 s61, s60, s61                                    // 000000008C08: 923D3D3C
	s_add_u32 s82, s82, s61                                    // 000000008C0C: 80523D52
	v_mul_lo_u32 v7, v4, s82                                   // 000000008C10: D2850007 0000A504
	v_add_u32_e32 v49, v6, v7                                  // 000000008C18: 68620F06
	v_readlane_b32 s82, v3, 4                                  // 000000008C1C: D2890052 00010903
	s_lshr_b32 s61, s82, 24                                    // 000000008C24: 8F3D9852
	s_and_b32 s82, s82, 0xffffff                               // 000000008C28: 8652FF52 00FFFFFF
	s_mul_i32 s82, s82, s71                                    // 000000008C30: 92524752
	s_mul_i32 s61, s60, s61                                    // 000000008C34: 923D3D3C
	s_add_u32 s82, s82, s61                                    // 000000008C38: 80523D52
	v_mul_lo_u32 v6, v5, s82                                   // 000000008C3C: D2850006 0000A505
	v_readlane_b32 s82, v3, 5                                  // 000000008C44: D2890052 00010B03
	s_lshr_b32 s61, s82, 24                                    // 000000008C4C: 8F3D9852
	s_and_b32 s82, s82, 0xffffff                               // 000000008C50: 8652FF52 00FFFFFF
	s_mul_i32 s82, s82, s71                                    // 000000008C58: 92524752
	s_mul_i32 s61, s60, s61                                    // 000000008C5C: 923D3D3C
	s_add_u32 s82, s82, s61                                    // 000000008C60: 80523D52
	v_mul_lo_u32 v7, v4, s82                                   // 000000008C64: D2850007 0000A504
	v_add_u32_e32 v50, v6, v7                                  // 000000008C6C: 68640F06
	v_readlane_b32 s82, v3, 6                                  // 000000008C70: D2890052 00010D03
	s_lshr_b32 s61, s82, 24                                    // 000000008C78: 8F3D9852
	s_and_b32 s82, s82, 0xffffff                               // 000000008C7C: 8652FF52 00FFFFFF
	s_mul_i32 s82, s82, s71                                    // 000000008C84: 92524752
	s_mul_i32 s61, s60, s61                                    // 000000008C88: 923D3D3C
	s_add_u32 s82, s82, s61                                    // 000000008C8C: 80523D52
	v_mul_lo_u32 v6, v5, s82                                   // 000000008C90: D2850006 0000A505
	v_readlane_b32 s82, v3, 7                                  // 000000008C98: D2890052 00010F03
	s_lshr_b32 s61, s82, 24                                    // 000000008CA0: 8F3D9852
	s_and_b32 s82, s82, 0xffffff                               // 000000008CA4: 8652FF52 00FFFFFF
	s_mul_i32 s82, s82, s71                                    // 000000008CAC: 92524752
	s_mul_i32 s61, s60, s61                                    // 000000008CB0: 923D3D3C
	s_add_u32 s82, s82, s61                                    // 000000008CB4: 80523D52
	v_mul_lo_u32 v7, v4, s82                                   // 000000008CB8: D2850007 0000A504
	v_add_u32_e32 v51, v6, v7                                  // 000000008CC0: 68660F06
	v_readlane_b32 s82, v3, 8                                  // 000000008CC4: D2890052 00011103
	s_lshr_b32 s61, s82, 24                                    // 000000008CCC: 8F3D9852
	s_and_b32 s82, s82, 0xffffff                               // 000000008CD0: 8652FF52 00FFFFFF
	s_mul_i32 s82, s82, s71                                    // 000000008CD8: 92524752
	s_mul_i32 s61, s60, s61                                    // 000000008CDC: 923D3D3C
	s_add_u32 s82, s82, s61                                    // 000000008CE0: 80523D52
	v_mul_lo_u32 v6, v5, s82                                   // 000000008CE4: D2850006 0000A505
	v_readlane_b32 s82, v3, 9                                  // 000000008CEC: D2890052 00011303
	s_lshr_b32 s61, s82, 24                                    // 000000008CF4: 8F3D9852
	s_and_b32 s82, s82, 0xffffff                               // 000000008CF8: 8652FF52 00FFFFFF
	s_mul_i32 s82, s82, s71                                    // 000000008D00: 92524752
	s_mul_i32 s61, s60, s61                                    // 000000008D04: 923D3D3C
	s_add_u32 s82, s82, s61                                    // 000000008D08: 80523D52
	v_mul_lo_u32 v7, v4, s82                                   // 000000008D0C: D2850007 0000A504
	v_add_u32_e32 v52, v6, v7                                  // 000000008D14: 68680F06
	v_readlane_b32 s82, v3, 10                                 // 000000008D18: D2890052 00011503
	s_lshr_b32 s61, s82, 24                                    // 000000008D20: 8F3D9852
	s_and_b32 s82, s82, 0xffffff                               // 000000008D24: 8652FF52 00FFFFFF
	s_mul_i32 s82, s82, s71                                    // 000000008D2C: 92524752
	s_mul_i32 s61, s60, s61                                    // 000000008D30: 923D3D3C
	s_add_u32 s82, s82, s61                                    // 000000008D34: 80523D52
	v_mul_lo_u32 v6, v5, s82                                   // 000000008D38: D2850006 0000A505
	v_readlane_b32 s82, v3, 11                                 // 000000008D40: D2890052 00011703
	s_lshr_b32 s61, s82, 24                                    // 000000008D48: 8F3D9852
	s_and_b32 s82, s82, 0xffffff                               // 000000008D4C: 8652FF52 00FFFFFF
	s_mul_i32 s82, s82, s71                                    // 000000008D54: 92524752
	s_mul_i32 s61, s60, s61                                    // 000000008D58: 923D3D3C
	s_add_u32 s82, s82, s61                                    // 000000008D5C: 80523D52
	v_mul_lo_u32 v7, v4, s82                                   // 000000008D60: D2850007 0000A504
	v_add_u32_e32 v53, v6, v7                                  // 000000008D68: 686A0F06
	v_readlane_b32 s82, v3, 12                                 // 000000008D6C: D2890052 00011903
	s_lshr_b32 s61, s82, 24                                    // 000000008D74: 8F3D9852
	s_and_b32 s82, s82, 0xffffff                               // 000000008D78: 8652FF52 00FFFFFF
	s_mul_i32 s82, s82, s71                                    // 000000008D80: 92524752
	s_mul_i32 s61, s60, s61                                    // 000000008D84: 923D3D3C
	s_add_u32 s82, s82, s61                                    // 000000008D88: 80523D52
	v_mul_lo_u32 v6, v5, s82                                   // 000000008D8C: D2850006 0000A505
	v_readlane_b32 s82, v3, 13                                 // 000000008D94: D2890052 00011B03
	s_lshr_b32 s61, s82, 24                                    // 000000008D9C: 8F3D9852
	s_and_b32 s82, s82, 0xffffff                               // 000000008DA0: 8652FF52 00FFFFFF
	s_mul_i32 s82, s82, s71                                    // 000000008DA8: 92524752
	s_mul_i32 s61, s60, s61                                    // 000000008DAC: 923D3D3C
	s_add_u32 s82, s82, s61                                    // 000000008DB0: 80523D52
	v_mul_lo_u32 v7, v4, s82                                   // 000000008DB4: D2850007 0000A504
	v_add_u32_e32 v54, v6, v7                                  // 000000008DBC: 686C0F06
	v_readlane_b32 s82, v3, 14                                 // 000000008DC0: D2890052 00011D03
	s_lshr_b32 s61, s82, 24                                    // 000000008DC8: 8F3D9852
	s_and_b32 s82, s82, 0xffffff                               // 000000008DCC: 8652FF52 00FFFFFF
	s_mul_i32 s82, s82, s71                                    // 000000008DD4: 92524752
	s_mul_i32 s61, s60, s61                                    // 000000008DD8: 923D3D3C
	s_add_u32 s82, s82, s61                                    // 000000008DDC: 80523D52
	v_mul_lo_u32 v6, v5, s82                                   // 000000008DE0: D2850006 0000A505
	v_readlane_b32 s82, v3, 15                                 // 000000008DE8: D2890052 00011F03
	s_lshr_b32 s61, s82, 24                                    // 000000008DF0: 8F3D9852
	s_and_b32 s82, s82, 0xffffff                               // 000000008DF4: 8652FF52 00FFFFFF
	s_mul_i32 s82, s82, s71                                    // 000000008DFC: 92524752
	s_mul_i32 s61, s60, s61                                    // 000000008E00: 923D3D3C
	s_add_u32 s82, s82, s61                                    // 000000008E04: 80523D52
	v_mul_lo_u32 v7, v4, s82                                   // 000000008E08: D2850007 0000A504
	v_add_u32_e32 v55, v6, v7                                  // 000000008E10: 686E0F06
	v_readlane_b32 s82, v3, 16                                 // 000000008E14: D2890052 00012103
	s_lshr_b32 s61, s82, 24                                    // 000000008E1C: 8F3D9852
	s_and_b32 s82, s82, 0xffffff                               // 000000008E20: 8652FF52 00FFFFFF
	s_mul_i32 s82, s82, s71                                    // 000000008E28: 92524752
	s_mul_i32 s61, s60, s61                                    // 000000008E2C: 923D3D3C
	s_add_u32 s82, s82, s61                                    // 000000008E30: 80523D52
	v_mul_lo_u32 v6, v5, s82                                   // 000000008E34: D2850006 0000A505
	v_readlane_b32 s82, v3, 17                                 // 000000008E3C: D2890052 00012303
	s_lshr_b32 s61, s82, 24                                    // 000000008E44: 8F3D9852
	s_and_b32 s82, s82, 0xffffff                               // 000000008E48: 8652FF52 00FFFFFF
	s_mul_i32 s82, s82, s71                                    // 000000008E50: 92524752
	s_mul_i32 s61, s60, s61                                    // 000000008E54: 923D3D3C
	s_add_u32 s82, s82, s61                                    // 000000008E58: 80523D52
	v_mul_lo_u32 v7, v4, s82                                   // 000000008E5C: D2850007 0000A504
	v_add_u32_e32 v56, v6, v7                                  // 000000008E64: 68700F06
	v_readlane_b32 s82, v3, 18                                 // 000000008E68: D2890052 00012503
	s_lshr_b32 s61, s82, 24                                    // 000000008E70: 8F3D9852
	s_and_b32 s82, s82, 0xffffff                               // 000000008E74: 8652FF52 00FFFFFF
	s_mul_i32 s82, s82, s71                                    // 000000008E7C: 92524752
	s_mul_i32 s61, s60, s61                                    // 000000008E80: 923D3D3C
	s_add_u32 s82, s82, s61                                    // 000000008E84: 80523D52
	v_mul_lo_u32 v6, v5, s82                                   // 000000008E88: D2850006 0000A505
	v_readlane_b32 s82, v3, 19                                 // 000000008E90: D2890052 00012703
	s_lshr_b32 s61, s82, 24                                    // 000000008E98: 8F3D9852
	s_and_b32 s82, s82, 0xffffff                               // 000000008E9C: 8652FF52 00FFFFFF
	s_mul_i32 s82, s82, s71                                    // 000000008EA4: 92524752
	s_mul_i32 s61, s60, s61                                    // 000000008EA8: 923D3D3C
	s_add_u32 s82, s82, s61                                    // 000000008EAC: 80523D52
	v_mul_lo_u32 v7, v4, s82                                   // 000000008EB0: D2850007 0000A504
	v_add_u32_e32 v57, v6, v7                                  // 000000008EB8: 68720F06
	v_and_b32_e32 v4, 31, v0                                   // 000000008EBC: 2608009F
	v_lshrrev_b32_e32 v4, 1, v4                                // 000000008EC0: 20080881
	s_cmp_eq_u32 s88, 0                                        // 000000008EC4: BF068058
	s_cselect_b32 s61, 2, 4                                    // 000000008EC8: 853D8482
	v_mul_lo_u32 v4, v4, s61                                   // 000000008ECC: D2850004 00007B04
	v_and_b32_e64 v5, v0, 1                                    // 000000008ED4: D1130005 00010300
	v_add_u32_e32 v4, v4, v5                                   // 000000008EDC: 68080B04
	v_lshlrev_b32_e32 v4, 2, v4                                // 000000008EE0: 24080882
	v_add_u32_e32 v48, v48, v4                                 // 000000008EE4: 68600930
	v_add_u32_e32 v49, v49, v4                                 // 000000008EE8: 68620931
	v_add_u32_e32 v50, v50, v4                                 // 000000008EEC: 68640932
	v_add_u32_e32 v51, v51, v4                                 // 000000008EF0: 68660933
	v_add_u32_e32 v52, v52, v4                                 // 000000008EF4: 68680934
	v_add_u32_e32 v53, v53, v4                                 // 000000008EF8: 686A0935
	v_add_u32_e32 v54, v54, v4                                 // 000000008EFC: 686C0936
	v_add_u32_e32 v55, v55, v4                                 // 000000008F00: 686E0937
	v_add_u32_e32 v56, v56, v4                                 // 000000008F04: 68700938
	v_add_u32_e32 v57, v57, v4                                 // 000000008F08: 68720939
	s_waitcnt lgkmcnt(0)                                       // 000000008F0C: BF8CC07F
	s_barrier                                                  // 000000008F10: BF8A0000
	ds_read_b32 v60, v21                                       // 000000008F14: D86C0000 3C000015
	ds_read_b32 v61, v21 offset:64                             // 000000008F1C: D86C0040 3D000015
	ds_read_b32 v62, v21 offset:2176                           // 000000008F24: D86C0880 3E000015
	ds_read_b32 v63, v21 offset:2240                           // 000000008F2C: D86C08C0 3F000015
	ds_read_b32 v64, v21 offset:4352                           // 000000008F34: D86C1100 40000015
	ds_read_b32 v65, v21 offset:4416                           // 000000008F3C: D86C1140 41000015
	ds_read_b32 v66, v21 offset:6528                           // 000000008F44: D86C1980 42000015
	ds_read_b32 v67, v21 offset:6592                           // 000000008F4C: D86C19C0 43000015
	ds_read_b32 v68, v21 offset:8704                           // 000000008F54: D86C2200 44000015
	ds_read_b32 v69, v21 offset:8768                           // 000000008F5C: D86C2240 45000015
	ds_read_b32 v70, v21 offset:10880                          // 000000008F64: D86C2A80 46000015
	ds_read_b32 v71, v21 offset:10944                          // 000000008F6C: D86C2AC0 47000015
	ds_read_b32 v72, v21 offset:13056                          // 000000008F74: D86C3300 48000015
	ds_read_b32 v73, v21 offset:13120                          // 000000008F7C: D86C3340 49000015
	ds_read_b32 v74, v21 offset:15232                          // 000000008F84: D86C3B80 4A000015
	ds_read_b32 v75, v21 offset:15296                          // 000000008F8C: D86C3BC0 4B000015
	ds_read_b32 v76, v21 offset:17408                          // 000000008F94: D86C4400 4C000015
	ds_read_b32 v77, v21 offset:17472                          // 000000008F9C: D86C4440 4D000015
	ds_read_b32 v78, v21 offset:19584                          // 000000008FA4: D86C4C80 4E000015
	ds_read_b32 v79, v21 offset:19648                          // 000000008FAC: D86C4CC0 4F000015
	s_waitcnt lgkmcnt(0)                                       // 000000008FB4: BF8CC07F
	s_mov_b32 s36, -1                                          // 000000008FB8: BEA400C1
	s_mov_b32 s37, -1                                          // 000000008FBC: BEA500C1
	v_mov_b32_e32 v7, 0                                        // 000000008FC0: 7E0E0280
	s_or_b32 s9, s9, 0x40000                                   // 000000008FC4: 8709FF09 00040000
	s_mov_b64 exec, s[36:37]                                   // 000000008FCC: BEFE0124
	v_mov_b32_e32 v6, v48                                      // 000000008FD0: 7E0C0330
	s_mov_b64 s[60:61], 0                                      // 000000008FD4: BEBC0180
	v_readlane_b32 s82, v3, 0                                  // 000000008FD8: D2890052 00010103
	s_and_b32 s82, s82, 0xffffff                               // 000000008FE0: 8652FF52 00FFFFFF
	s_cmp_lt_u32 s82, s66                                      // 000000008FE8: BF0A4252
	s_cselect_b32 s20, s36, s60                                // 000000008FEC: 85143C24
	v_readlane_b32 s82, v3, 1                                  // 000000008FF0: D2890052 00010303
	s_and_b32 s82, s82, 0xffffff                               // 000000008FF8: 8652FF52 00FFFFFF
	s_cmp_lt_u32 s82, s66                                      // 000000009000: BF0A4252
	s_cselect_b32 s21, s36, s60                                // 000000009004: 85153C24
	s_mov_b64 exec, s[20:21]                                   // 000000009008: BEFE0114
	buffer_store_dword v60, v6, s[8:11], 0 offen               // 00000000900C: E0701000 80023C06
	buffer_store_dword v62, v6, s[8:11], 0 offen offset:128    // 000000009014: E0701080 80023E06
	s_mov_b64 exec, s[36:37]                                   // 00000000901C: BEFE0124
	v_mov_b32_e32 v6, v49                                      // 000000009020: 7E0C0331
	s_mov_b64 s[60:61], 0                                      // 000000009024: BEBC0180
	v_readlane_b32 s82, v3, 2                                  // 000000009028: D2890052 00010503
	s_and_b32 s82, s82, 0xffffff                               // 000000009030: 8652FF52 00FFFFFF
	s_cmp_lt_u32 s82, s66                                      // 000000009038: BF0A4252
	s_cselect_b32 s20, s36, s60                                // 00000000903C: 85143C24
	v_readlane_b32 s82, v3, 3                                  // 000000009040: D2890052 00010703
	s_and_b32 s82, s82, 0xffffff                               // 000000009048: 8652FF52 00FFFFFF
	s_cmp_lt_u32 s82, s66                                      // 000000009050: BF0A4252
	s_cselect_b32 s21, s36, s60                                // 000000009054: 85153C24
	s_mov_b64 exec, s[20:21]                                   // 000000009058: BEFE0114
	buffer_store_dword v61, v6, s[8:11], 0 offen               // 00000000905C: E0701000 80023D06
	buffer_store_dword v63, v6, s[8:11], 0 offen offset:128    // 000000009064: E0701080 80023F06
	s_mov_b64 exec, s[36:37]                                   // 00000000906C: BEFE0124
	v_mov_b32_e32 v6, v50                                      // 000000009070: 7E0C0332
	s_mov_b64 s[60:61], 0                                      // 000000009074: BEBC0180
	v_readlane_b32 s82, v3, 4                                  // 000000009078: D2890052 00010903
	s_and_b32 s82, s82, 0xffffff                               // 000000009080: 8652FF52 00FFFFFF
	s_cmp_lt_u32 s82, s66                                      // 000000009088: BF0A4252
	s_cselect_b32 s20, s36, s60                                // 00000000908C: 85143C24
	v_readlane_b32 s82, v3, 5                                  // 000000009090: D2890052 00010B03
	s_and_b32 s82, s82, 0xffffff                               // 000000009098: 8652FF52 00FFFFFF
	s_cmp_lt_u32 s82, s66                                      // 0000000090A0: BF0A4252
	s_cselect_b32 s21, s36, s60                                // 0000000090A4: 85153C24
	s_mov_b64 exec, s[20:21]                                   // 0000000090A8: BEFE0114
	buffer_store_dword v64, v6, s[8:11], 0 offen               // 0000000090AC: E0701000 80024006
	buffer_store_dword v66, v6, s[8:11], 0 offen offset:128    // 0000000090B4: E0701080 80024206
	s_mov_b64 exec, s[36:37]                                   // 0000000090BC: BEFE0124
	v_mov_b32_e32 v6, v51                                      // 0000000090C0: 7E0C0333
	s_mov_b64 s[60:61], 0                                      // 0000000090C4: BEBC0180
	v_readlane_b32 s82, v3, 6                                  // 0000000090C8: D2890052 00010D03
	s_and_b32 s82, s82, 0xffffff                               // 0000000090D0: 8652FF52 00FFFFFF
	s_cmp_lt_u32 s82, s66                                      // 0000000090D8: BF0A4252
	s_cselect_b32 s20, s36, s60                                // 0000000090DC: 85143C24
	v_readlane_b32 s82, v3, 7                                  // 0000000090E0: D2890052 00010F03
	s_and_b32 s82, s82, 0xffffff                               // 0000000090E8: 8652FF52 00FFFFFF
	s_cmp_lt_u32 s82, s66                                      // 0000000090F0: BF0A4252
	s_cselect_b32 s21, s36, s60                                // 0000000090F4: 85153C24
	s_mov_b64 exec, s[20:21]                                   // 0000000090F8: BEFE0114
	buffer_store_dword v65, v6, s[8:11], 0 offen               // 0000000090FC: E0701000 80024106
	buffer_store_dword v67, v6, s[8:11], 0 offen offset:128    // 000000009104: E0701080 80024306
	s_mov_b64 exec, s[36:37]                                   // 00000000910C: BEFE0124
	v_mov_b32_e32 v6, v52                                      // 000000009110: 7E0C0334
	s_mov_b64 s[60:61], 0                                      // 000000009114: BEBC0180
	v_readlane_b32 s82, v3, 8                                  // 000000009118: D2890052 00011103
	s_and_b32 s82, s82, 0xffffff                               // 000000009120: 8652FF52 00FFFFFF
	s_cmp_lt_u32 s82, s66                                      // 000000009128: BF0A4252
	s_cselect_b32 s20, s36, s60                                // 00000000912C: 85143C24
	v_readlane_b32 s82, v3, 9                                  // 000000009130: D2890052 00011303
	s_and_b32 s82, s82, 0xffffff                               // 000000009138: 8652FF52 00FFFFFF
	s_cmp_lt_u32 s82, s66                                      // 000000009140: BF0A4252
	s_cselect_b32 s21, s36, s60                                // 000000009144: 85153C24
	s_mov_b64 exec, s[20:21]                                   // 000000009148: BEFE0114
	buffer_store_dword v68, v6, s[8:11], 0 offen               // 00000000914C: E0701000 80024406
	buffer_store_dword v70, v6, s[8:11], 0 offen offset:128    // 000000009154: E0701080 80024606
	s_mov_b64 exec, s[36:37]                                   // 00000000915C: BEFE0124
	v_mov_b32_e32 v6, v53                                      // 000000009160: 7E0C0335
	s_mov_b64 s[60:61], 0                                      // 000000009164: BEBC0180
	v_readlane_b32 s82, v3, 10                                 // 000000009168: D2890052 00011503
	s_and_b32 s82, s82, 0xffffff                               // 000000009170: 8652FF52 00FFFFFF
	s_cmp_lt_u32 s82, s66                                      // 000000009178: BF0A4252
	s_cselect_b32 s20, s36, s60                                // 00000000917C: 85143C24
	v_readlane_b32 s82, v3, 11                                 // 000000009180: D2890052 00011703
	s_and_b32 s82, s82, 0xffffff                               // 000000009188: 8652FF52 00FFFFFF
	s_cmp_lt_u32 s82, s66                                      // 000000009190: BF0A4252
	s_cselect_b32 s21, s36, s60                                // 000000009194: 85153C24
	s_mov_b64 exec, s[20:21]                                   // 000000009198: BEFE0114
	buffer_store_dword v69, v6, s[8:11], 0 offen               // 00000000919C: E0701000 80024506
	buffer_store_dword v71, v6, s[8:11], 0 offen offset:128    // 0000000091A4: E0701080 80024706
	s_mov_b64 exec, s[36:37]                                   // 0000000091AC: BEFE0124
	v_mov_b32_e32 v6, v54                                      // 0000000091B0: 7E0C0336
	s_mov_b64 s[60:61], 0                                      // 0000000091B4: BEBC0180
	v_readlane_b32 s82, v3, 12                                 // 0000000091B8: D2890052 00011903
	s_and_b32 s82, s82, 0xffffff                               // 0000000091C0: 8652FF52 00FFFFFF
	s_cmp_lt_u32 s82, s66                                      // 0000000091C8: BF0A4252
	s_cselect_b32 s20, s36, s60                                // 0000000091CC: 85143C24
	v_readlane_b32 s82, v3, 13                                 // 0000000091D0: D2890052 00011B03
	s_and_b32 s82, s82, 0xffffff                               // 0000000091D8: 8652FF52 00FFFFFF
	s_cmp_lt_u32 s82, s66                                      // 0000000091E0: BF0A4252
	s_cselect_b32 s21, s36, s60                                // 0000000091E4: 85153C24
	s_mov_b64 exec, s[20:21]                                   // 0000000091E8: BEFE0114
	buffer_store_dword v72, v6, s[8:11], 0 offen               // 0000000091EC: E0701000 80024806
	buffer_store_dword v74, v6, s[8:11], 0 offen offset:128    // 0000000091F4: E0701080 80024A06
	s_mov_b64 exec, s[36:37]                                   // 0000000091FC: BEFE0124
	v_mov_b32_e32 v6, v55                                      // 000000009200: 7E0C0337
	s_mov_b64 s[60:61], 0                                      // 000000009204: BEBC0180
	v_readlane_b32 s82, v3, 14                                 // 000000009208: D2890052 00011D03
	s_and_b32 s82, s82, 0xffffff                               // 000000009210: 8652FF52 00FFFFFF
	s_cmp_lt_u32 s82, s66                                      // 000000009218: BF0A4252
	s_cselect_b32 s20, s36, s60                                // 00000000921C: 85143C24
	v_readlane_b32 s82, v3, 15                                 // 000000009220: D2890052 00011F03
	s_and_b32 s82, s82, 0xffffff                               // 000000009228: 8652FF52 00FFFFFF
	s_cmp_lt_u32 s82, s66                                      // 000000009230: BF0A4252
	s_cselect_b32 s21, s36, s60                                // 000000009234: 85153C24
	s_mov_b64 exec, s[20:21]                                   // 000000009238: BEFE0114
	buffer_store_dword v73, v6, s[8:11], 0 offen               // 00000000923C: E0701000 80024906
	buffer_store_dword v75, v6, s[8:11], 0 offen offset:128    // 000000009244: E0701080 80024B06
	s_mov_b64 exec, s[36:37]                                   // 00000000924C: BEFE0124
	v_mov_b32_e32 v6, v56                                      // 000000009250: 7E0C0338
	s_mov_b64 s[60:61], 0                                      // 000000009254: BEBC0180
	v_readlane_b32 s82, v3, 16                                 // 000000009258: D2890052 00012103
	s_and_b32 s82, s82, 0xffffff                               // 000000009260: 8652FF52 00FFFFFF
	s_cmp_lt_u32 s82, s66                                      // 000000009268: BF0A4252
	s_cselect_b32 s20, s36, s60                                // 00000000926C: 85143C24
	v_readlane_b32 s82, v3, 17                                 // 000000009270: D2890052 00012303
	s_and_b32 s82, s82, 0xffffff                               // 000000009278: 8652FF52 00FFFFFF
	s_cmp_lt_u32 s82, s66                                      // 000000009280: BF0A4252
	s_cselect_b32 s21, s36, s60                                // 000000009284: 85153C24
	s_mov_b64 exec, s[20:21]                                   // 000000009288: BEFE0114
	buffer_store_dword v76, v6, s[8:11], 0 offen               // 00000000928C: E0701000 80024C06
	buffer_store_dword v78, v6, s[8:11], 0 offen offset:128    // 000000009294: E0701080 80024E06
	s_mov_b64 exec, s[36:37]                                   // 00000000929C: BEFE0124
	v_mov_b32_e32 v6, v57                                      // 0000000092A0: 7E0C0339
	s_mov_b64 s[60:61], 0                                      // 0000000092A4: BEBC0180
	v_readlane_b32 s82, v3, 18                                 // 0000000092A8: D2890052 00012503
	s_and_b32 s82, s82, 0xffffff                               // 0000000092B0: 8652FF52 00FFFFFF
	s_cmp_lt_u32 s82, s66                                      // 0000000092B8: BF0A4252
	s_cselect_b32 s20, s36, s60                                // 0000000092BC: 85143C24
	v_readlane_b32 s82, v3, 19                                 // 0000000092C0: D2890052 00012703
	s_and_b32 s82, s82, 0xffffff                               // 0000000092C8: 8652FF52 00FFFFFF
	s_cmp_lt_u32 s82, s66                                      // 0000000092D0: BF0A4252
	s_cselect_b32 s21, s36, s60                                // 0000000092D4: 85153C24
	s_mov_b64 exec, s[20:21]                                   // 0000000092D8: BEFE0114
	buffer_store_dword v77, v6, s[8:11], 0 offen               // 0000000092DC: E0701000 80024D06
	buffer_store_dword v79, v6, s[8:11], 0 offen offset:128    // 0000000092E4: E0701080 80024F06
	s_mov_b64 exec, s[36:37]                                   // 0000000092EC: BEFE0124
	s_branch label_1F56                                        // 0000000092F0: BF820516

00000000000092f4 <label_1A40>:
	ds_write_b64 v20, v[60:61]                                 // 0000000092F4: D89A0000 00003C14
	ds_write_b64 v20, v[64:65] offset:4352                     // 0000000092FC: D89A1100 00004014
	ds_write_b64 v20, v[68:69] offset:8704                     // 000000009304: D89A2200 00004414
	ds_write_b64 v20, v[72:73] offset:13056                    // 00000000930C: D89A3300 00004814
	ds_write_b64 v20, v[76:77] offset:17408                    // 000000009314: D89A4400 00004C14
	ds_write_b64 v20, v[80:81] offset:2176                     // 00000000931C: D89A0880 00005014
	ds_write_b64 v20, v[84:85] offset:6528                     // 000000009324: D89A1980 00005414
	ds_write_b64 v20, v[88:89] offset:10880                    // 00000000932C: D89A2A80 00005814
	ds_write_b64 v20, v[92:93] offset:15232                    // 000000009334: D89A3B80 00005C14
	ds_write_b64 v20, v[96:97] offset:19584                    // 00000000933C: D89A4C80 00006014
	v_lshrrev_b32_e32 v4, 5, v0                                // 000000009344: 20080085
	v_xor_b32_e32 v5, 1, v4                                    // 000000009348: 2A0A0881
	s_mul_i32 s60, s65, 2                                      // 00000000934C: 923C8241
	s_cmp_eq_u32 s88, 0                                        // 000000009350: BF068058
	s_cselect_b32 s61, 1, 4                                    // 000000009354: 853D8481
	s_mul_i32 s60, s61, s60                                    // 000000009358: 923C3C3D
	v_readlane_b32 s82, v3, 0                                  // 00000000935C: D2890052 00010103
	s_lshr_b32 s61, s82, 24                                    // 000000009364: 8F3D9852
	s_and_b32 s82, s82, 0xffffff                               // 000000009368: 8652FF52 00FFFFFF
	s_mul_i32 s82, s82, s71                                    // 000000009370: 92524752
	s_mul_i32 s61, s60, s61                                    // 000000009374: 923D3D3C
	s_add_u32 s82, s82, s61                                    // 000000009378: 80523D52
	v_mul_lo_u32 v6, v5, s82                                   // 00000000937C: D2850006 0000A505
	v_readlane_b32 s82, v3, 1                                  // 000000009384: D2890052 00010303
	s_lshr_b32 s61, s82, 24                                    // 00000000938C: 8F3D9852
	s_and_b32 s82, s82, 0xffffff                               // 000000009390: 8652FF52 00FFFFFF
	s_mul_i32 s82, s82, s71                                    // 000000009398: 92524752
	s_mul_i32 s61, s60, s61                                    // 00000000939C: 923D3D3C
	s_add_u32 s82, s82, s61                                    // 0000000093A0: 80523D52
	v_mul_lo_u32 v7, v4, s82                                   // 0000000093A4: D2850007 0000A504
	v_add_u32_e32 v48, v6, v7                                  // 0000000093AC: 68600F06
	v_readlane_b32 s82, v3, 2                                  // 0000000093B0: D2890052 00010503
	s_lshr_b32 s61, s82, 24                                    // 0000000093B8: 8F3D9852
	s_and_b32 s82, s82, 0xffffff                               // 0000000093BC: 8652FF52 00FFFFFF
	s_mul_i32 s82, s82, s71                                    // 0000000093C4: 92524752
	s_mul_i32 s61, s60, s61                                    // 0000000093C8: 923D3D3C
	s_add_u32 s82, s82, s61                                    // 0000000093CC: 80523D52
	v_mul_lo_u32 v6, v5, s82                                   // 0000000093D0: D2850006 0000A505
	v_readlane_b32 s82, v3, 3                                  // 0000000093D8: D2890052 00010703
	s_lshr_b32 s61, s82, 24                                    // 0000000093E0: 8F3D9852
	s_and_b32 s82, s82, 0xffffff                               // 0000000093E4: 8652FF52 00FFFFFF
	s_mul_i32 s82, s82, s71                                    // 0000000093EC: 92524752
	s_mul_i32 s61, s60, s61                                    // 0000000093F0: 923D3D3C
	s_add_u32 s82, s82, s61                                    // 0000000093F4: 80523D52
	v_mul_lo_u32 v7, v4, s82                                   // 0000000093F8: D2850007 0000A504
	v_add_u32_e32 v49, v6, v7                                  // 000000009400: 68620F06
	v_readlane_b32 s82, v3, 4                                  // 000000009404: D2890052 00010903
	s_lshr_b32 s61, s82, 24                                    // 00000000940C: 8F3D9852
	s_and_b32 s82, s82, 0xffffff                               // 000000009410: 8652FF52 00FFFFFF
	s_mul_i32 s82, s82, s71                                    // 000000009418: 92524752
	s_mul_i32 s61, s60, s61                                    // 00000000941C: 923D3D3C
	s_add_u32 s82, s82, s61                                    // 000000009420: 80523D52
	v_mul_lo_u32 v6, v5, s82                                   // 000000009424: D2850006 0000A505
	v_readlane_b32 s82, v3, 5                                  // 00000000942C: D2890052 00010B03
	s_lshr_b32 s61, s82, 24                                    // 000000009434: 8F3D9852
	s_and_b32 s82, s82, 0xffffff                               // 000000009438: 8652FF52 00FFFFFF
	s_mul_i32 s82, s82, s71                                    // 000000009440: 92524752
	s_mul_i32 s61, s60, s61                                    // 000000009444: 923D3D3C
	s_add_u32 s82, s82, s61                                    // 000000009448: 80523D52
	v_mul_lo_u32 v7, v4, s82                                   // 00000000944C: D2850007 0000A504
	v_add_u32_e32 v50, v6, v7                                  // 000000009454: 68640F06
	v_readlane_b32 s82, v3, 6                                  // 000000009458: D2890052 00010D03
	s_lshr_b32 s61, s82, 24                                    // 000000009460: 8F3D9852
	s_and_b32 s82, s82, 0xffffff                               // 000000009464: 8652FF52 00FFFFFF
	s_mul_i32 s82, s82, s71                                    // 00000000946C: 92524752
	s_mul_i32 s61, s60, s61                                    // 000000009470: 923D3D3C
	s_add_u32 s82, s82, s61                                    // 000000009474: 80523D52
	v_mul_lo_u32 v6, v5, s82                                   // 000000009478: D2850006 0000A505
	v_readlane_b32 s82, v3, 7                                  // 000000009480: D2890052 00010F03
	s_lshr_b32 s61, s82, 24                                    // 000000009488: 8F3D9852
	s_and_b32 s82, s82, 0xffffff                               // 00000000948C: 8652FF52 00FFFFFF
	s_mul_i32 s82, s82, s71                                    // 000000009494: 92524752
	s_mul_i32 s61, s60, s61                                    // 000000009498: 923D3D3C
	s_add_u32 s82, s82, s61                                    // 00000000949C: 80523D52
	v_mul_lo_u32 v7, v4, s82                                   // 0000000094A0: D2850007 0000A504
	v_add_u32_e32 v51, v6, v7                                  // 0000000094A8: 68660F06
	v_readlane_b32 s82, v3, 8                                  // 0000000094AC: D2890052 00011103
	s_lshr_b32 s61, s82, 24                                    // 0000000094B4: 8F3D9852
	s_and_b32 s82, s82, 0xffffff                               // 0000000094B8: 8652FF52 00FFFFFF
	s_mul_i32 s82, s82, s71                                    // 0000000094C0: 92524752
	s_mul_i32 s61, s60, s61                                    // 0000000094C4: 923D3D3C
	s_add_u32 s82, s82, s61                                    // 0000000094C8: 80523D52
	v_mul_lo_u32 v6, v5, s82                                   // 0000000094CC: D2850006 0000A505
	v_readlane_b32 s82, v3, 9                                  // 0000000094D4: D2890052 00011303
	s_lshr_b32 s61, s82, 24                                    // 0000000094DC: 8F3D9852
	s_and_b32 s82, s82, 0xffffff                               // 0000000094E0: 8652FF52 00FFFFFF
	s_mul_i32 s82, s82, s71                                    // 0000000094E8: 92524752
	s_mul_i32 s61, s60, s61                                    // 0000000094EC: 923D3D3C
	s_add_u32 s82, s82, s61                                    // 0000000094F0: 80523D52
	v_mul_lo_u32 v7, v4, s82                                   // 0000000094F4: D2850007 0000A504
	v_add_u32_e32 v52, v6, v7                                  // 0000000094FC: 68680F06
	v_readlane_b32 s82, v3, 10                                 // 000000009500: D2890052 00011503
	s_lshr_b32 s61, s82, 24                                    // 000000009508: 8F3D9852
	s_and_b32 s82, s82, 0xffffff                               // 00000000950C: 8652FF52 00FFFFFF
	s_mul_i32 s82, s82, s71                                    // 000000009514: 92524752
	s_mul_i32 s61, s60, s61                                    // 000000009518: 923D3D3C
	s_add_u32 s82, s82, s61                                    // 00000000951C: 80523D52
	v_mul_lo_u32 v6, v5, s82                                   // 000000009520: D2850006 0000A505
	v_readlane_b32 s82, v3, 11                                 // 000000009528: D2890052 00011703
	s_lshr_b32 s61, s82, 24                                    // 000000009530: 8F3D9852
	s_and_b32 s82, s82, 0xffffff                               // 000000009534: 8652FF52 00FFFFFF
	s_mul_i32 s82, s82, s71                                    // 00000000953C: 92524752
	s_mul_i32 s61, s60, s61                                    // 000000009540: 923D3D3C
	s_add_u32 s82, s82, s61                                    // 000000009544: 80523D52
	v_mul_lo_u32 v7, v4, s82                                   // 000000009548: D2850007 0000A504
	v_add_u32_e32 v53, v6, v7                                  // 000000009550: 686A0F06
	v_readlane_b32 s82, v3, 12                                 // 000000009554: D2890052 00011903
	s_lshr_b32 s61, s82, 24                                    // 00000000955C: 8F3D9852
	s_and_b32 s82, s82, 0xffffff                               // 000000009560: 8652FF52 00FFFFFF
	s_mul_i32 s82, s82, s71                                    // 000000009568: 92524752
	s_mul_i32 s61, s60, s61                                    // 00000000956C: 923D3D3C
	s_add_u32 s82, s82, s61                                    // 000000009570: 80523D52
	v_mul_lo_u32 v6, v5, s82                                   // 000000009574: D2850006 0000A505
	v_readlane_b32 s82, v3, 13                                 // 00000000957C: D2890052 00011B03
	s_lshr_b32 s61, s82, 24                                    // 000000009584: 8F3D9852
	s_and_b32 s82, s82, 0xffffff                               // 000000009588: 8652FF52 00FFFFFF
	s_mul_i32 s82, s82, s71                                    // 000000009590: 92524752
	s_mul_i32 s61, s60, s61                                    // 000000009594: 923D3D3C
	s_add_u32 s82, s82, s61                                    // 000000009598: 80523D52
	v_mul_lo_u32 v7, v4, s82                                   // 00000000959C: D2850007 0000A504
	v_add_u32_e32 v54, v6, v7                                  // 0000000095A4: 686C0F06
	v_readlane_b32 s82, v3, 14                                 // 0000000095A8: D2890052 00011D03
	s_lshr_b32 s61, s82, 24                                    // 0000000095B0: 8F3D9852
	s_and_b32 s82, s82, 0xffffff                               // 0000000095B4: 8652FF52 00FFFFFF
	s_mul_i32 s82, s82, s71                                    // 0000000095BC: 92524752
	s_mul_i32 s61, s60, s61                                    // 0000000095C0: 923D3D3C
	s_add_u32 s82, s82, s61                                    // 0000000095C4: 80523D52
	v_mul_lo_u32 v6, v5, s82                                   // 0000000095C8: D2850006 0000A505
	v_readlane_b32 s82, v3, 15                                 // 0000000095D0: D2890052 00011F03
	s_lshr_b32 s61, s82, 24                                    // 0000000095D8: 8F3D9852
	s_and_b32 s82, s82, 0xffffff                               // 0000000095DC: 8652FF52 00FFFFFF
	s_mul_i32 s82, s82, s71                                    // 0000000095E4: 92524752
	s_mul_i32 s61, s60, s61                                    // 0000000095E8: 923D3D3C
	s_add_u32 s82, s82, s61                                    // 0000000095EC: 80523D52
	v_mul_lo_u32 v7, v4, s82                                   // 0000000095F0: D2850007 0000A504
	v_add_u32_e32 v55, v6, v7                                  // 0000000095F8: 686E0F06
	v_readlane_b32 s82, v3, 16                                 // 0000000095FC: D2890052 00012103
	s_lshr_b32 s61, s82, 24                                    // 000000009604: 8F3D9852
	s_and_b32 s82, s82, 0xffffff                               // 000000009608: 8652FF52 00FFFFFF
	s_mul_i32 s82, s82, s71                                    // 000000009610: 92524752
	s_mul_i32 s61, s60, s61                                    // 000000009614: 923D3D3C
	s_add_u32 s82, s82, s61                                    // 000000009618: 80523D52
	v_mul_lo_u32 v6, v5, s82                                   // 00000000961C: D2850006 0000A505
	v_readlane_b32 s82, v3, 17                                 // 000000009624: D2890052 00012303
	s_lshr_b32 s61, s82, 24                                    // 00000000962C: 8F3D9852
	s_and_b32 s82, s82, 0xffffff                               // 000000009630: 8652FF52 00FFFFFF
	s_mul_i32 s82, s82, s71                                    // 000000009638: 92524752
	s_mul_i32 s61, s60, s61                                    // 00000000963C: 923D3D3C
	s_add_u32 s82, s82, s61                                    // 000000009640: 80523D52
	v_mul_lo_u32 v7, v4, s82                                   // 000000009644: D2850007 0000A504
	v_add_u32_e32 v56, v6, v7                                  // 00000000964C: 68700F06
	v_readlane_b32 s82, v3, 18                                 // 000000009650: D2890052 00012503
	s_lshr_b32 s61, s82, 24                                    // 000000009658: 8F3D9852
	s_and_b32 s82, s82, 0xffffff                               // 00000000965C: 8652FF52 00FFFFFF
	s_mul_i32 s82, s82, s71                                    // 000000009664: 92524752
	s_mul_i32 s61, s60, s61                                    // 000000009668: 923D3D3C
	s_add_u32 s82, s82, s61                                    // 00000000966C: 80523D52
	v_mul_lo_u32 v6, v5, s82                                   // 000000009670: D2850006 0000A505
	v_readlane_b32 s82, v3, 19                                 // 000000009678: D2890052 00012703
	s_lshr_b32 s61, s82, 24                                    // 000000009680: 8F3D9852
	s_and_b32 s82, s82, 0xffffff                               // 000000009684: 8652FF52 00FFFFFF
	s_mul_i32 s82, s82, s71                                    // 00000000968C: 92524752
	s_mul_i32 s61, s60, s61                                    // 000000009690: 923D3D3C
	s_add_u32 s82, s82, s61                                    // 000000009694: 80523D52
	v_mul_lo_u32 v7, v4, s82                                   // 000000009698: D2850007 0000A504
	v_add_u32_e32 v57, v6, v7                                  // 0000000096A0: 68720F06
	v_and_b32_e32 v4, 31, v0                                   // 0000000096A4: 2608009F
	v_lshrrev_b32_e32 v4, 1, v4                                // 0000000096A8: 20080881
	s_cmp_eq_u32 s88, 0                                        // 0000000096AC: BF068058
	s_cselect_b32 s61, 2, 4                                    // 0000000096B0: 853D8482
	v_mul_lo_u32 v4, v4, s61                                   // 0000000096B4: D2850004 00007B04
	v_and_b32_e64 v5, v0, 1                                    // 0000000096BC: D1130005 00010300
	v_add_u32_e32 v4, v4, v5                                   // 0000000096C4: 68080B04
	v_lshlrev_b32_e32 v4, 2, v4                                // 0000000096C8: 24080882
	v_add_u32_e32 v48, v48, v4                                 // 0000000096CC: 68600930
	v_add_u32_e32 v49, v49, v4                                 // 0000000096D0: 68620931
	v_add_u32_e32 v50, v50, v4                                 // 0000000096D4: 68640932
	v_add_u32_e32 v51, v51, v4                                 // 0000000096D8: 68660933
	v_add_u32_e32 v52, v52, v4                                 // 0000000096DC: 68680934
	v_add_u32_e32 v53, v53, v4                                 // 0000000096E0: 686A0935
	v_add_u32_e32 v54, v54, v4                                 // 0000000096E4: 686C0936
	v_add_u32_e32 v55, v55, v4                                 // 0000000096E8: 686E0937
	v_add_u32_e32 v56, v56, v4                                 // 0000000096EC: 68700938
	v_add_u32_e32 v57, v57, v4                                 // 0000000096F0: 68720939
	s_waitcnt lgkmcnt(0)                                       // 0000000096F4: BF8CC07F
	s_barrier                                                  // 0000000096F8: BF8A0000
	ds_read_b32 v60, v21                                       // 0000000096FC: D86C0000 3C000015
	ds_read_b32 v61, v21 offset:64                             // 000000009704: D86C0040 3D000015
	ds_read_b32 v64, v21 offset:2176                           // 00000000970C: D86C0880 40000015
	ds_read_b32 v65, v21 offset:2240                           // 000000009714: D86C08C0 41000015
	ds_read_b32 v68, v21 offset:4352                           // 00000000971C: D86C1100 44000015
	ds_read_b32 v69, v21 offset:4416                           // 000000009724: D86C1140 45000015
	ds_read_b32 v72, v21 offset:6528                           // 00000000972C: D86C1980 48000015
	ds_read_b32 v73, v21 offset:6592                           // 000000009734: D86C19C0 49000015
	ds_read_b32 v76, v21 offset:8704                           // 00000000973C: D86C2200 4C000015
	ds_read_b32 v77, v21 offset:8768                           // 000000009744: D86C2240 4D000015
	ds_read_b32 v80, v21 offset:10880                          // 00000000974C: D86C2A80 50000015
	ds_read_b32 v81, v21 offset:10944                          // 000000009754: D86C2AC0 51000015
	ds_read_b32 v84, v21 offset:13056                          // 00000000975C: D86C3300 54000015
	ds_read_b32 v85, v21 offset:13120                          // 000000009764: D86C3340 55000015
	ds_read_b32 v88, v21 offset:15232                          // 00000000976C: D86C3B80 58000015
	ds_read_b32 v89, v21 offset:15296                          // 000000009774: D86C3BC0 59000015
	ds_read_b32 v92, v21 offset:17408                          // 00000000977C: D86C4400 5C000015
	ds_read_b32 v93, v21 offset:17472                          // 000000009784: D86C4440 5D000015
	ds_read_b32 v96, v21 offset:19584                          // 00000000978C: D86C4C80 60000015
	ds_read_b32 v97, v21 offset:19648                          // 000000009794: D86C4CC0 61000015
	s_waitcnt lgkmcnt(0)                                       // 00000000979C: BF8CC07F
	s_mov_b32 s36, -1                                          // 0000000097A0: BEA400C1
	s_mov_b32 s37, -1                                          // 0000000097A4: BEA500C1
	v_mov_b32_e32 v7, 0                                        // 0000000097A8: 7E0E0280
	s_mov_b64 exec, s[36:37]                                   // 0000000097AC: BEFE0124
	v_mov_b32_e32 v6, v48                                      // 0000000097B0: 7E0C0330
	s_mov_b64 s[60:61], 0                                      // 0000000097B4: BEBC0180
	v_readlane_b32 s82, v3, 0                                  // 0000000097B8: D2890052 00010103
	s_and_b32 s82, s82, 0xffffff                               // 0000000097C0: 8652FF52 00FFFFFF
	s_cmp_lt_u32 s82, s66                                      // 0000000097C8: BF0A4252
	s_cselect_b32 s20, s36, s60                                // 0000000097CC: 85143C24
	v_readlane_b32 s82, v3, 1                                  // 0000000097D0: D2890052 00010303
	s_and_b32 s82, s82, 0xffffff                               // 0000000097D8: 8652FF52 00FFFFFF
	s_cmp_lt_u32 s82, s66                                      // 0000000097E0: BF0A4252
	s_cselect_b32 s21, s36, s60                                // 0000000097E4: 85153C24
	s_mov_b64 exec, s[20:21]                                   // 0000000097E8: BEFE0114
	global_atomic_add_f32 v6, v60, s[8:9]                      // 0000000097EC: DD348000 00083C06
	global_atomic_add_f32 v6, v64, s[8:9] offset:256           // 0000000097F4: DD348100 00084006
	s_mov_b64 exec, s[36:37]                                   // 0000000097FC: BEFE0124
	v_mov_b32_e32 v6, v49                                      // 000000009800: 7E0C0331
	s_mov_b64 s[60:61], 0                                      // 000000009804: BEBC0180
	v_readlane_b32 s82, v3, 2                                  // 000000009808: D2890052 00010503
	s_and_b32 s82, s82, 0xffffff                               // 000000009810: 8652FF52 00FFFFFF
	s_cmp_lt_u32 s82, s66                                      // 000000009818: BF0A4252
	s_cselect_b32 s20, s36, s60                                // 00000000981C: 85143C24
	v_readlane_b32 s82, v3, 3                                  // 000000009820: D2890052 00010703
	s_and_b32 s82, s82, 0xffffff                               // 000000009828: 8652FF52 00FFFFFF
	s_cmp_lt_u32 s82, s66                                      // 000000009830: BF0A4252
	s_cselect_b32 s21, s36, s60                                // 000000009834: 85153C24
	s_mov_b64 exec, s[20:21]                                   // 000000009838: BEFE0114
	global_atomic_add_f32 v6, v61, s[8:9]                      // 00000000983C: DD348000 00083D06
	global_atomic_add_f32 v6, v65, s[8:9] offset:256           // 000000009844: DD348100 00084106
	s_mov_b64 exec, s[36:37]                                   // 00000000984C: BEFE0124
	v_mov_b32_e32 v6, v50                                      // 000000009850: 7E0C0332
	s_mov_b64 s[60:61], 0                                      // 000000009854: BEBC0180
	v_readlane_b32 s82, v3, 4                                  // 000000009858: D2890052 00010903
	s_and_b32 s82, s82, 0xffffff                               // 000000009860: 8652FF52 00FFFFFF
	s_cmp_lt_u32 s82, s66                                      // 000000009868: BF0A4252
	s_cselect_b32 s20, s36, s60                                // 00000000986C: 85143C24
	v_readlane_b32 s82, v3, 5                                  // 000000009870: D2890052 00010B03
	s_and_b32 s82, s82, 0xffffff                               // 000000009878: 8652FF52 00FFFFFF
	s_cmp_lt_u32 s82, s66                                      // 000000009880: BF0A4252
	s_cselect_b32 s21, s36, s60                                // 000000009884: 85153C24
	s_mov_b64 exec, s[20:21]                                   // 000000009888: BEFE0114
	global_atomic_add_f32 v6, v68, s[8:9]                      // 00000000988C: DD348000 00084406
	global_atomic_add_f32 v6, v72, s[8:9] offset:256           // 000000009894: DD348100 00084806
	s_mov_b64 exec, s[36:37]                                   // 00000000989C: BEFE0124
	v_mov_b32_e32 v6, v51                                      // 0000000098A0: 7E0C0333
	s_mov_b64 s[60:61], 0                                      // 0000000098A4: BEBC0180
	v_readlane_b32 s82, v3, 6                                  // 0000000098A8: D2890052 00010D03
	s_and_b32 s82, s82, 0xffffff                               // 0000000098B0: 8652FF52 00FFFFFF
	s_cmp_lt_u32 s82, s66                                      // 0000000098B8: BF0A4252
	s_cselect_b32 s20, s36, s60                                // 0000000098BC: 85143C24
	v_readlane_b32 s82, v3, 7                                  // 0000000098C0: D2890052 00010F03
	s_and_b32 s82, s82, 0xffffff                               // 0000000098C8: 8652FF52 00FFFFFF
	s_cmp_lt_u32 s82, s66                                      // 0000000098D0: BF0A4252
	s_cselect_b32 s21, s36, s60                                // 0000000098D4: 85153C24
	s_mov_b64 exec, s[20:21]                                   // 0000000098D8: BEFE0114
	global_atomic_add_f32 v6, v69, s[8:9]                      // 0000000098DC: DD348000 00084506
	global_atomic_add_f32 v6, v73, s[8:9] offset:256           // 0000000098E4: DD348100 00084906
	s_mov_b64 exec, s[36:37]                                   // 0000000098EC: BEFE0124
	v_mov_b32_e32 v6, v52                                      // 0000000098F0: 7E0C0334
	s_mov_b64 s[60:61], 0                                      // 0000000098F4: BEBC0180
	v_readlane_b32 s82, v3, 8                                  // 0000000098F8: D2890052 00011103
	s_and_b32 s82, s82, 0xffffff                               // 000000009900: 8652FF52 00FFFFFF
	s_cmp_lt_u32 s82, s66                                      // 000000009908: BF0A4252
	s_cselect_b32 s20, s36, s60                                // 00000000990C: 85143C24
	v_readlane_b32 s82, v3, 9                                  // 000000009910: D2890052 00011303
	s_and_b32 s82, s82, 0xffffff                               // 000000009918: 8652FF52 00FFFFFF
	s_cmp_lt_u32 s82, s66                                      // 000000009920: BF0A4252
	s_cselect_b32 s21, s36, s60                                // 000000009924: 85153C24
	s_mov_b64 exec, s[20:21]                                   // 000000009928: BEFE0114
	global_atomic_add_f32 v6, v76, s[8:9]                      // 00000000992C: DD348000 00084C06
	global_atomic_add_f32 v6, v80, s[8:9] offset:256           // 000000009934: DD348100 00085006
	s_mov_b64 exec, s[36:37]                                   // 00000000993C: BEFE0124
	v_mov_b32_e32 v6, v53                                      // 000000009940: 7E0C0335
	s_mov_b64 s[60:61], 0                                      // 000000009944: BEBC0180
	v_readlane_b32 s82, v3, 10                                 // 000000009948: D2890052 00011503
	s_and_b32 s82, s82, 0xffffff                               // 000000009950: 8652FF52 00FFFFFF
	s_cmp_lt_u32 s82, s66                                      // 000000009958: BF0A4252
	s_cselect_b32 s20, s36, s60                                // 00000000995C: 85143C24
	v_readlane_b32 s82, v3, 11                                 // 000000009960: D2890052 00011703
	s_and_b32 s82, s82, 0xffffff                               // 000000009968: 8652FF52 00FFFFFF
	s_cmp_lt_u32 s82, s66                                      // 000000009970: BF0A4252
	s_cselect_b32 s21, s36, s60                                // 000000009974: 85153C24
	s_mov_b64 exec, s[20:21]                                   // 000000009978: BEFE0114
	global_atomic_add_f32 v6, v77, s[8:9]                      // 00000000997C: DD348000 00084D06
	global_atomic_add_f32 v6, v81, s[8:9] offset:256           // 000000009984: DD348100 00085106
	s_mov_b64 exec, s[36:37]                                   // 00000000998C: BEFE0124
	v_mov_b32_e32 v6, v54                                      // 000000009990: 7E0C0336
	s_mov_b64 s[60:61], 0                                      // 000000009994: BEBC0180
	v_readlane_b32 s82, v3, 12                                 // 000000009998: D2890052 00011903
	s_and_b32 s82, s82, 0xffffff                               // 0000000099A0: 8652FF52 00FFFFFF
	s_cmp_lt_u32 s82, s66                                      // 0000000099A8: BF0A4252
	s_cselect_b32 s20, s36, s60                                // 0000000099AC: 85143C24
	v_readlane_b32 s82, v3, 13                                 // 0000000099B0: D2890052 00011B03
	s_and_b32 s82, s82, 0xffffff                               // 0000000099B8: 8652FF52 00FFFFFF
	s_cmp_lt_u32 s82, s66                                      // 0000000099C0: BF0A4252
	s_cselect_b32 s21, s36, s60                                // 0000000099C4: 85153C24
	s_mov_b64 exec, s[20:21]                                   // 0000000099C8: BEFE0114
	global_atomic_add_f32 v6, v84, s[8:9]                      // 0000000099CC: DD348000 00085406
	global_atomic_add_f32 v6, v88, s[8:9] offset:256           // 0000000099D4: DD348100 00085806
	s_mov_b64 exec, s[36:37]                                   // 0000000099DC: BEFE0124
	v_mov_b32_e32 v6, v55                                      // 0000000099E0: 7E0C0337
	s_mov_b64 s[60:61], 0                                      // 0000000099E4: BEBC0180
	v_readlane_b32 s82, v3, 14                                 // 0000000099E8: D2890052 00011D03
	s_and_b32 s82, s82, 0xffffff                               // 0000000099F0: 8652FF52 00FFFFFF
	s_cmp_lt_u32 s82, s66                                      // 0000000099F8: BF0A4252
	s_cselect_b32 s20, s36, s60                                // 0000000099FC: 85143C24
	v_readlane_b32 s82, v3, 15                                 // 000000009A00: D2890052 00011F03
	s_and_b32 s82, s82, 0xffffff                               // 000000009A08: 8652FF52 00FFFFFF
	s_cmp_lt_u32 s82, s66                                      // 000000009A10: BF0A4252
	s_cselect_b32 s21, s36, s60                                // 000000009A14: 85153C24
	s_mov_b64 exec, s[20:21]                                   // 000000009A18: BEFE0114
	global_atomic_add_f32 v6, v85, s[8:9]                      // 000000009A1C: DD348000 00085506
	global_atomic_add_f32 v6, v89, s[8:9] offset:256           // 000000009A24: DD348100 00085906
	s_mov_b64 exec, s[36:37]                                   // 000000009A2C: BEFE0124
	v_mov_b32_e32 v6, v56                                      // 000000009A30: 7E0C0338
	s_mov_b64 s[60:61], 0                                      // 000000009A34: BEBC0180
	v_readlane_b32 s82, v3, 16                                 // 000000009A38: D2890052 00012103
	s_and_b32 s82, s82, 0xffffff                               // 000000009A40: 8652FF52 00FFFFFF
	s_cmp_lt_u32 s82, s66                                      // 000000009A48: BF0A4252
	s_cselect_b32 s20, s36, s60                                // 000000009A4C: 85143C24
	v_readlane_b32 s82, v3, 17                                 // 000000009A50: D2890052 00012303
	s_and_b32 s82, s82, 0xffffff                               // 000000009A58: 8652FF52 00FFFFFF
	s_cmp_lt_u32 s82, s66                                      // 000000009A60: BF0A4252
	s_cselect_b32 s21, s36, s60                                // 000000009A64: 85153C24
	s_mov_b64 exec, s[20:21]                                   // 000000009A68: BEFE0114
	global_atomic_add_f32 v6, v92, s[8:9]                      // 000000009A6C: DD348000 00085C06
	global_atomic_add_f32 v6, v96, s[8:9] offset:256           // 000000009A74: DD348100 00086006
	s_mov_b64 exec, s[36:37]                                   // 000000009A7C: BEFE0124
	v_mov_b32_e32 v6, v57                                      // 000000009A80: 7E0C0339
	s_mov_b64 s[60:61], 0                                      // 000000009A84: BEBC0180
	v_readlane_b32 s82, v3, 18                                 // 000000009A88: D2890052 00012503
	s_and_b32 s82, s82, 0xffffff                               // 000000009A90: 8652FF52 00FFFFFF
	s_cmp_lt_u32 s82, s66                                      // 000000009A98: BF0A4252
	s_cselect_b32 s20, s36, s60                                // 000000009A9C: 85143C24
	v_readlane_b32 s82, v3, 19                                 // 000000009AA0: D2890052 00012703
	s_and_b32 s82, s82, 0xffffff                               // 000000009AA8: 8652FF52 00FFFFFF
	s_cmp_lt_u32 s82, s66                                      // 000000009AB0: BF0A4252
	s_cselect_b32 s21, s36, s60                                // 000000009AB4: 85153C24
	s_mov_b64 exec, s[20:21]                                   // 000000009AB8: BEFE0114
	global_atomic_add_f32 v6, v93, s[8:9]                      // 000000009ABC: DD348000 00085D06
	global_atomic_add_f32 v6, v97, s[8:9] offset:256           // 000000009AC4: DD348100 00086106
	s_mov_b64 exec, s[36:37]                                   // 000000009ACC: BEFE0124
	ds_write_b64 v20, v[62:63]                                 // 000000009AD0: D89A0000 00003E14
	ds_write_b64 v20, v[66:67] offset:4352                     // 000000009AD8: D89A1100 00004214
	ds_write_b64 v20, v[70:71] offset:8704                     // 000000009AE0: D89A2200 00004614
	ds_write_b64 v20, v[74:75] offset:13056                    // 000000009AE8: D89A3300 00004A14
	ds_write_b64 v20, v[78:79] offset:17408                    // 000000009AF0: D89A4400 00004E14
	ds_write_b64 v20, v[82:83] offset:2176                     // 000000009AF8: D89A0880 00005214
	ds_write_b64 v20, v[86:87] offset:6528                     // 000000009B00: D89A1980 00005614
	ds_write_b64 v20, v[90:91] offset:10880                    // 000000009B08: D89A2A80 00005A14
	ds_write_b64 v20, v[94:95] offset:15232                    // 000000009B10: D89A3B80 00005E14
	ds_write_b64 v20, v[98:99] offset:19584                    // 000000009B18: D89A4C80 00006214
	s_waitcnt lgkmcnt(0)                                       // 000000009B20: BF8CC07F
	s_barrier                                                  // 000000009B24: BF8A0000
	ds_read_b32 v62, v21                                       // 000000009B28: D86C0000 3E000015
	ds_read_b32 v63, v21 offset:64                             // 000000009B30: D86C0040 3F000015
	ds_read_b32 v66, v21 offset:2176                           // 000000009B38: D86C0880 42000015
	ds_read_b32 v67, v21 offset:2240                           // 000000009B40: D86C08C0 43000015
	ds_read_b32 v70, v21 offset:4352                           // 000000009B48: D86C1100 46000015
	ds_read_b32 v71, v21 offset:4416                           // 000000009B50: D86C1140 47000015
	ds_read_b32 v74, v21 offset:6528                           // 000000009B58: D86C1980 4A000015
	ds_read_b32 v75, v21 offset:6592                           // 000000009B60: D86C19C0 4B000015
	ds_read_b32 v78, v21 offset:8704                           // 000000009B68: D86C2200 4E000015
	ds_read_b32 v79, v21 offset:8768                           // 000000009B70: D86C2240 4F000015
	ds_read_b32 v82, v21 offset:10880                          // 000000009B78: D86C2A80 52000015
	ds_read_b32 v83, v21 offset:10944                          // 000000009B80: D86C2AC0 53000015
	ds_read_b32 v86, v21 offset:13056                          // 000000009B88: D86C3300 56000015
	ds_read_b32 v87, v21 offset:13120                          // 000000009B90: D86C3340 57000015
	ds_read_b32 v90, v21 offset:15232                          // 000000009B98: D86C3B80 5A000015
	ds_read_b32 v91, v21 offset:15296                          // 000000009BA0: D86C3BC0 5B000015
	ds_read_b32 v94, v21 offset:17408                          // 000000009BA8: D86C4400 5E000015
	ds_read_b32 v95, v21 offset:17472                          // 000000009BB0: D86C4440 5F000015
	ds_read_b32 v98, v21 offset:19584                          // 000000009BB8: D86C4C80 62000015
	ds_read_b32 v99, v21 offset:19648                          // 000000009BC0: D86C4CC0 63000015
	s_waitcnt lgkmcnt(0)                                       // 000000009BC8: BF8CC07F
	v_mov_b32_e32 v7, 0                                        // 000000009BCC: 7E0E0280
	s_mov_b64 exec, s[36:37]                                   // 000000009BD0: BEFE0124
	v_mov_b32_e32 v6, v48                                      // 000000009BD4: 7E0C0330
	s_mov_b64 s[60:61], 0                                      // 000000009BD8: BEBC0180
	v_readlane_b32 s82, v3, 0                                  // 000000009BDC: D2890052 00010103
	s_and_b32 s82, s82, 0xffffff                               // 000000009BE4: 8652FF52 00FFFFFF
	s_cmp_lt_u32 s82, s66                                      // 000000009BEC: BF0A4252
	s_cselect_b32 s20, s36, s60                                // 000000009BF0: 85143C24
	v_readlane_b32 s82, v3, 1                                  // 000000009BF4: D2890052 00010303
	s_and_b32 s82, s82, 0xffffff                               // 000000009BFC: 8652FF52 00FFFFFF
	s_cmp_lt_u32 s82, s66                                      // 000000009C04: BF0A4252
	s_cselect_b32 s21, s36, s60                                // 000000009C08: 85153C24
	s_mov_b64 exec, s[20:21]                                   // 000000009C0C: BEFE0114
	global_atomic_add_f32 v6, v62, s[8:9] offset:8             // 000000009C10: DD348008 00083E06
	global_atomic_add_f32 v6, v66, s[8:9] offset:264           // 000000009C18: DD348108 00084206
	s_mov_b64 exec, s[36:37]                                   // 000000009C20: BEFE0124
	v_mov_b32_e32 v6, v49                                      // 000000009C24: 7E0C0331
	s_mov_b64 s[60:61], 0                                      // 000000009C28: BEBC0180
	v_readlane_b32 s82, v3, 2                                  // 000000009C2C: D2890052 00010503
	s_and_b32 s82, s82, 0xffffff                               // 000000009C34: 8652FF52 00FFFFFF
	s_cmp_lt_u32 s82, s66                                      // 000000009C3C: BF0A4252
	s_cselect_b32 s20, s36, s60                                // 000000009C40: 85143C24
	v_readlane_b32 s82, v3, 3                                  // 000000009C44: D2890052 00010703
	s_and_b32 s82, s82, 0xffffff                               // 000000009C4C: 8652FF52 00FFFFFF
	s_cmp_lt_u32 s82, s66                                      // 000000009C54: BF0A4252
	s_cselect_b32 s21, s36, s60                                // 000000009C58: 85153C24
	s_mov_b64 exec, s[20:21]                                   // 000000009C5C: BEFE0114
	global_atomic_add_f32 v6, v63, s[8:9] offset:8             // 000000009C60: DD348008 00083F06
	global_atomic_add_f32 v6, v67, s[8:9] offset:264           // 000000009C68: DD348108 00084306
	s_mov_b64 exec, s[36:37]                                   // 000000009C70: BEFE0124
	v_mov_b32_e32 v6, v50                                      // 000000009C74: 7E0C0332
	s_mov_b64 s[60:61], 0                                      // 000000009C78: BEBC0180
	v_readlane_b32 s82, v3, 4                                  // 000000009C7C: D2890052 00010903
	s_and_b32 s82, s82, 0xffffff                               // 000000009C84: 8652FF52 00FFFFFF
	s_cmp_lt_u32 s82, s66                                      // 000000009C8C: BF0A4252
	s_cselect_b32 s20, s36, s60                                // 000000009C90: 85143C24
	v_readlane_b32 s82, v3, 5                                  // 000000009C94: D2890052 00010B03
	s_and_b32 s82, s82, 0xffffff                               // 000000009C9C: 8652FF52 00FFFFFF
	s_cmp_lt_u32 s82, s66                                      // 000000009CA4: BF0A4252
	s_cselect_b32 s21, s36, s60                                // 000000009CA8: 85153C24
	s_mov_b64 exec, s[20:21]                                   // 000000009CAC: BEFE0114
	global_atomic_add_f32 v6, v70, s[8:9] offset:8             // 000000009CB0: DD348008 00084606
	global_atomic_add_f32 v6, v74, s[8:9] offset:264           // 000000009CB8: DD348108 00084A06
	s_mov_b64 exec, s[36:37]                                   // 000000009CC0: BEFE0124
	v_mov_b32_e32 v6, v51                                      // 000000009CC4: 7E0C0333
	s_mov_b64 s[60:61], 0                                      // 000000009CC8: BEBC0180
	v_readlane_b32 s82, v3, 6                                  // 000000009CCC: D2890052 00010D03
	s_and_b32 s82, s82, 0xffffff                               // 000000009CD4: 8652FF52 00FFFFFF
	s_cmp_lt_u32 s82, s66                                      // 000000009CDC: BF0A4252
	s_cselect_b32 s20, s36, s60                                // 000000009CE0: 85143C24
	v_readlane_b32 s82, v3, 7                                  // 000000009CE4: D2890052 00010F03
	s_and_b32 s82, s82, 0xffffff                               // 000000009CEC: 8652FF52 00FFFFFF
	s_cmp_lt_u32 s82, s66                                      // 000000009CF4: BF0A4252
	s_cselect_b32 s21, s36, s60                                // 000000009CF8: 85153C24
	s_mov_b64 exec, s[20:21]                                   // 000000009CFC: BEFE0114
	global_atomic_add_f32 v6, v71, s[8:9] offset:8             // 000000009D00: DD348008 00084706
	global_atomic_add_f32 v6, v75, s[8:9] offset:264           // 000000009D08: DD348108 00084B06
	s_mov_b64 exec, s[36:37]                                   // 000000009D10: BEFE0124
	v_mov_b32_e32 v6, v52                                      // 000000009D14: 7E0C0334
	s_mov_b64 s[60:61], 0                                      // 000000009D18: BEBC0180
	v_readlane_b32 s82, v3, 8                                  // 000000009D1C: D2890052 00011103
	s_and_b32 s82, s82, 0xffffff                               // 000000009D24: 8652FF52 00FFFFFF
	s_cmp_lt_u32 s82, s66                                      // 000000009D2C: BF0A4252
	s_cselect_b32 s20, s36, s60                                // 000000009D30: 85143C24
	v_readlane_b32 s82, v3, 9                                  // 000000009D34: D2890052 00011303
	s_and_b32 s82, s82, 0xffffff                               // 000000009D3C: 8652FF52 00FFFFFF
	s_cmp_lt_u32 s82, s66                                      // 000000009D44: BF0A4252
	s_cselect_b32 s21, s36, s60                                // 000000009D48: 85153C24
	s_mov_b64 exec, s[20:21]                                   // 000000009D4C: BEFE0114
	global_atomic_add_f32 v6, v78, s[8:9] offset:8             // 000000009D50: DD348008 00084E06
	global_atomic_add_f32 v6, v82, s[8:9] offset:264           // 000000009D58: DD348108 00085206
	s_mov_b64 exec, s[36:37]                                   // 000000009D60: BEFE0124
	v_mov_b32_e32 v6, v53                                      // 000000009D64: 7E0C0335
	s_mov_b64 s[60:61], 0                                      // 000000009D68: BEBC0180
	v_readlane_b32 s82, v3, 10                                 // 000000009D6C: D2890052 00011503
	s_and_b32 s82, s82, 0xffffff                               // 000000009D74: 8652FF52 00FFFFFF
	s_cmp_lt_u32 s82, s66                                      // 000000009D7C: BF0A4252
	s_cselect_b32 s20, s36, s60                                // 000000009D80: 85143C24
	v_readlane_b32 s82, v3, 11                                 // 000000009D84: D2890052 00011703
	s_and_b32 s82, s82, 0xffffff                               // 000000009D8C: 8652FF52 00FFFFFF
	s_cmp_lt_u32 s82, s66                                      // 000000009D94: BF0A4252
	s_cselect_b32 s21, s36, s60                                // 000000009D98: 85153C24
	s_mov_b64 exec, s[20:21]                                   // 000000009D9C: BEFE0114
	global_atomic_add_f32 v6, v79, s[8:9] offset:8             // 000000009DA0: DD348008 00084F06
	global_atomic_add_f32 v6, v83, s[8:9] offset:264           // 000000009DA8: DD348108 00085306
	s_mov_b64 exec, s[36:37]                                   // 000000009DB0: BEFE0124
	v_mov_b32_e32 v6, v54                                      // 000000009DB4: 7E0C0336
	s_mov_b64 s[60:61], 0                                      // 000000009DB8: BEBC0180
	v_readlane_b32 s82, v3, 12                                 // 000000009DBC: D2890052 00011903
	s_and_b32 s82, s82, 0xffffff                               // 000000009DC4: 8652FF52 00FFFFFF
	s_cmp_lt_u32 s82, s66                                      // 000000009DCC: BF0A4252
	s_cselect_b32 s20, s36, s60                                // 000000009DD0: 85143C24
	v_readlane_b32 s82, v3, 13                                 // 000000009DD4: D2890052 00011B03
	s_and_b32 s82, s82, 0xffffff                               // 000000009DDC: 8652FF52 00FFFFFF
	s_cmp_lt_u32 s82, s66                                      // 000000009DE4: BF0A4252
	s_cselect_b32 s21, s36, s60                                // 000000009DE8: 85153C24
	s_mov_b64 exec, s[20:21]                                   // 000000009DEC: BEFE0114
	global_atomic_add_f32 v6, v86, s[8:9] offset:8             // 000000009DF0: DD348008 00085606
	global_atomic_add_f32 v6, v90, s[8:9] offset:264           // 000000009DF8: DD348108 00085A06
	s_mov_b64 exec, s[36:37]                                   // 000000009E00: BEFE0124
	v_mov_b32_e32 v6, v55                                      // 000000009E04: 7E0C0337
	s_mov_b64 s[60:61], 0                                      // 000000009E08: BEBC0180
	v_readlane_b32 s82, v3, 14                                 // 000000009E0C: D2890052 00011D03
	s_and_b32 s82, s82, 0xffffff                               // 000000009E14: 8652FF52 00FFFFFF
	s_cmp_lt_u32 s82, s66                                      // 000000009E1C: BF0A4252
	s_cselect_b32 s20, s36, s60                                // 000000009E20: 85143C24
	v_readlane_b32 s82, v3, 15                                 // 000000009E24: D2890052 00011F03
	s_and_b32 s82, s82, 0xffffff                               // 000000009E2C: 8652FF52 00FFFFFF
	s_cmp_lt_u32 s82, s66                                      // 000000009E34: BF0A4252
	s_cselect_b32 s21, s36, s60                                // 000000009E38: 85153C24
	s_mov_b64 exec, s[20:21]                                   // 000000009E3C: BEFE0114
	global_atomic_add_f32 v6, v87, s[8:9] offset:8             // 000000009E40: DD348008 00085706
	global_atomic_add_f32 v6, v91, s[8:9] offset:264           // 000000009E48: DD348108 00085B06
	s_mov_b64 exec, s[36:37]                                   // 000000009E50: BEFE0124
	v_mov_b32_e32 v6, v56                                      // 000000009E54: 7E0C0338
	s_mov_b64 s[60:61], 0                                      // 000000009E58: BEBC0180
	v_readlane_b32 s82, v3, 16                                 // 000000009E5C: D2890052 00012103
	s_and_b32 s82, s82, 0xffffff                               // 000000009E64: 8652FF52 00FFFFFF
	s_cmp_lt_u32 s82, s66                                      // 000000009E6C: BF0A4252
	s_cselect_b32 s20, s36, s60                                // 000000009E70: 85143C24
	v_readlane_b32 s82, v3, 17                                 // 000000009E74: D2890052 00012303
	s_and_b32 s82, s82, 0xffffff                               // 000000009E7C: 8652FF52 00FFFFFF
	s_cmp_lt_u32 s82, s66                                      // 000000009E84: BF0A4252
	s_cselect_b32 s21, s36, s60                                // 000000009E88: 85153C24
	s_mov_b64 exec, s[20:21]                                   // 000000009E8C: BEFE0114
	global_atomic_add_f32 v6, v94, s[8:9] offset:8             // 000000009E90: DD348008 00085E06
	global_atomic_add_f32 v6, v98, s[8:9] offset:264           // 000000009E98: DD348108 00086206
	s_mov_b64 exec, s[36:37]                                   // 000000009EA0: BEFE0124
	v_mov_b32_e32 v6, v57                                      // 000000009EA4: 7E0C0339
	s_mov_b64 s[60:61], 0                                      // 000000009EA8: BEBC0180
	v_readlane_b32 s82, v3, 18                                 // 000000009EAC: D2890052 00012503
	s_and_b32 s82, s82, 0xffffff                               // 000000009EB4: 8652FF52 00FFFFFF
	s_cmp_lt_u32 s82, s66                                      // 000000009EBC: BF0A4252
	s_cselect_b32 s20, s36, s60                                // 000000009EC0: 85143C24
	v_readlane_b32 s82, v3, 19                                 // 000000009EC4: D2890052 00012703
	s_and_b32 s82, s82, 0xffffff                               // 000000009ECC: 8652FF52 00FFFFFF
	s_cmp_lt_u32 s82, s66                                      // 000000009ED4: BF0A4252
	s_cselect_b32 s21, s36, s60                                // 000000009ED8: 85153C24
	s_mov_b64 exec, s[20:21]                                   // 000000009EDC: BEFE0114
	global_atomic_add_f32 v6, v95, s[8:9] offset:8             // 000000009EE0: DD348008 00085F06
	global_atomic_add_f32 v6, v99, s[8:9] offset:264           // 000000009EE8: DD348108 00086306
	s_mov_b64 exec, s[36:37]                                   // 000000009EF0: BEFE0124
	ds_write_b64 v20, v[100:101]                               // 000000009EF4: D89A0000 00006414
	ds_write_b64 v20, v[104:105] offset:4352                   // 000000009EFC: D89A1100 00006814
	ds_write_b64 v20, v[108:109] offset:8704                   // 000000009F04: D89A2200 00006C14
	ds_write_b64 v20, v[112:113] offset:13056                  // 000000009F0C: D89A3300 00007014
	ds_write_b64 v20, v[116:117] offset:17408                  // 000000009F14: D89A4400 00007414
	ds_write_b64 v20, v[120:121] offset:2176                   // 000000009F1C: D89A0880 00007814
	ds_write_b64 v20, v[124:125] offset:6528                   // 000000009F24: D89A1980 00007C14
	ds_write_b64 v20, v[128:129] offset:10880                  // 000000009F2C: D89A2A80 00008014
	ds_write_b64 v20, v[132:133] offset:15232                  // 000000009F34: D89A3B80 00008414
	ds_write_b64 v20, v[136:137] offset:19584                  // 000000009F3C: D89A4C80 00008814
	s_waitcnt lgkmcnt(0)                                       // 000000009F44: BF8CC07F
	s_barrier                                                  // 000000009F48: BF8A0000
	ds_read_b32 v100, v21                                      // 000000009F4C: D86C0000 64000015
	ds_read_b32 v101, v21 offset:64                            // 000000009F54: D86C0040 65000015
	ds_read_b32 v104, v21 offset:2176                          // 000000009F5C: D86C0880 68000015
	ds_read_b32 v105, v21 offset:2240                          // 000000009F64: D86C08C0 69000015
	ds_read_b32 v108, v21 offset:4352                          // 000000009F6C: D86C1100 6C000015
	ds_read_b32 v109, v21 offset:4416                          // 000000009F74: D86C1140 6D000015
	ds_read_b32 v112, v21 offset:6528                          // 000000009F7C: D86C1980 70000015
	ds_read_b32 v113, v21 offset:6592                          // 000000009F84: D86C19C0 71000015
	ds_read_b32 v116, v21 offset:8704                          // 000000009F8C: D86C2200 74000015
	ds_read_b32 v117, v21 offset:8768                          // 000000009F94: D86C2240 75000015
	ds_read_b32 v120, v21 offset:10880                         // 000000009F9C: D86C2A80 78000015
	ds_read_b32 v121, v21 offset:10944                         // 000000009FA4: D86C2AC0 79000015
	ds_read_b32 v124, v21 offset:13056                         // 000000009FAC: D86C3300 7C000015
	ds_read_b32 v125, v21 offset:13120                         // 000000009FB4: D86C3340 7D000015
	ds_read_b32 v128, v21 offset:15232                         // 000000009FBC: D86C3B80 80000015
	ds_read_b32 v129, v21 offset:15296                         // 000000009FC4: D86C3BC0 81000015
	ds_read_b32 v132, v21 offset:17408                         // 000000009FCC: D86C4400 84000015
	ds_read_b32 v133, v21 offset:17472                         // 000000009FD4: D86C4440 85000015
	ds_read_b32 v136, v21 offset:19584                         // 000000009FDC: D86C4C80 88000015
	ds_read_b32 v137, v21 offset:19648                         // 000000009FE4: D86C4CC0 89000015
	s_mul_i32 s60, s65, 4                                      // 000000009FEC: 923C8441
	s_add_u32 s8, s60, s8                                      // 000000009FF0: 8008083C
	s_addc_u32 s9, 0, s9                                       // 000000009FF4: 82090980
	s_waitcnt lgkmcnt(0)                                       // 000000009FF8: BF8CC07F
	v_mov_b32_e32 v7, 0                                        // 000000009FFC: 7E0E0280
	s_mov_b64 exec, s[36:37]                                   // 00000000A000: BEFE0124
	v_mov_b32_e32 v6, v48                                      // 00000000A004: 7E0C0330
	s_mov_b64 s[60:61], 0                                      // 00000000A008: BEBC0180
	v_readlane_b32 s82, v3, 0                                  // 00000000A00C: D2890052 00010103
	s_and_b32 s82, s82, 0xffffff                               // 00000000A014: 8652FF52 00FFFFFF
	s_cmp_lt_u32 s82, s66                                      // 00000000A01C: BF0A4252
	s_cselect_b32 s20, s36, s60                                // 00000000A020: 85143C24
	v_readlane_b32 s82, v3, 1                                  // 00000000A024: D2890052 00010303
	s_and_b32 s82, s82, 0xffffff                               // 00000000A02C: 8652FF52 00FFFFFF
	s_cmp_lt_u32 s82, s66                                      // 00000000A034: BF0A4252
	s_cselect_b32 s21, s36, s60                                // 00000000A038: 85153C24
	s_mov_b64 exec, s[20:21]                                   // 00000000A03C: BEFE0114
	global_atomic_add_f32 v6, v100, s[8:9]                     // 00000000A040: DD348000 00086406
	global_atomic_add_f32 v6, v104, s[8:9] offset:256          // 00000000A048: DD348100 00086806
	s_mov_b64 exec, s[36:37]                                   // 00000000A050: BEFE0124
	v_mov_b32_e32 v6, v49                                      // 00000000A054: 7E0C0331
	s_mov_b64 s[60:61], 0                                      // 00000000A058: BEBC0180
	v_readlane_b32 s82, v3, 2                                  // 00000000A05C: D2890052 00010503
	s_and_b32 s82, s82, 0xffffff                               // 00000000A064: 8652FF52 00FFFFFF
	s_cmp_lt_u32 s82, s66                                      // 00000000A06C: BF0A4252
	s_cselect_b32 s20, s36, s60                                // 00000000A070: 85143C24
	v_readlane_b32 s82, v3, 3                                  // 00000000A074: D2890052 00010703
	s_and_b32 s82, s82, 0xffffff                               // 00000000A07C: 8652FF52 00FFFFFF
	s_cmp_lt_u32 s82, s66                                      // 00000000A084: BF0A4252
	s_cselect_b32 s21, s36, s60                                // 00000000A088: 85153C24
	s_mov_b64 exec, s[20:21]                                   // 00000000A08C: BEFE0114
	global_atomic_add_f32 v6, v101, s[8:9]                     // 00000000A090: DD348000 00086506
	global_atomic_add_f32 v6, v105, s[8:9] offset:256          // 00000000A098: DD348100 00086906
	s_mov_b64 exec, s[36:37]                                   // 00000000A0A0: BEFE0124
	v_mov_b32_e32 v6, v50                                      // 00000000A0A4: 7E0C0332
	s_mov_b64 s[60:61], 0                                      // 00000000A0A8: BEBC0180
	v_readlane_b32 s82, v3, 4                                  // 00000000A0AC: D2890052 00010903
	s_and_b32 s82, s82, 0xffffff                               // 00000000A0B4: 8652FF52 00FFFFFF
	s_cmp_lt_u32 s82, s66                                      // 00000000A0BC: BF0A4252
	s_cselect_b32 s20, s36, s60                                // 00000000A0C0: 85143C24
	v_readlane_b32 s82, v3, 5                                  // 00000000A0C4: D2890052 00010B03
	s_and_b32 s82, s82, 0xffffff                               // 00000000A0CC: 8652FF52 00FFFFFF
	s_cmp_lt_u32 s82, s66                                      // 00000000A0D4: BF0A4252
	s_cselect_b32 s21, s36, s60                                // 00000000A0D8: 85153C24
	s_mov_b64 exec, s[20:21]                                   // 00000000A0DC: BEFE0114
	global_atomic_add_f32 v6, v108, s[8:9]                     // 00000000A0E0: DD348000 00086C06
	global_atomic_add_f32 v6, v112, s[8:9] offset:256          // 00000000A0E8: DD348100 00087006
	s_mov_b64 exec, s[36:37]                                   // 00000000A0F0: BEFE0124
	v_mov_b32_e32 v6, v51                                      // 00000000A0F4: 7E0C0333
	s_mov_b64 s[60:61], 0                                      // 00000000A0F8: BEBC0180
	v_readlane_b32 s82, v3, 6                                  // 00000000A0FC: D2890052 00010D03
	s_and_b32 s82, s82, 0xffffff                               // 00000000A104: 8652FF52 00FFFFFF
	s_cmp_lt_u32 s82, s66                                      // 00000000A10C: BF0A4252
	s_cselect_b32 s20, s36, s60                                // 00000000A110: 85143C24
	v_readlane_b32 s82, v3, 7                                  // 00000000A114: D2890052 00010F03
	s_and_b32 s82, s82, 0xffffff                               // 00000000A11C: 8652FF52 00FFFFFF
	s_cmp_lt_u32 s82, s66                                      // 00000000A124: BF0A4252
	s_cselect_b32 s21, s36, s60                                // 00000000A128: 85153C24
	s_mov_b64 exec, s[20:21]                                   // 00000000A12C: BEFE0114
	global_atomic_add_f32 v6, v109, s[8:9]                     // 00000000A130: DD348000 00086D06
	global_atomic_add_f32 v6, v113, s[8:9] offset:256          // 00000000A138: DD348100 00087106
	s_mov_b64 exec, s[36:37]                                   // 00000000A140: BEFE0124
	v_mov_b32_e32 v6, v52                                      // 00000000A144: 7E0C0334
	s_mov_b64 s[60:61], 0                                      // 00000000A148: BEBC0180
	v_readlane_b32 s82, v3, 8                                  // 00000000A14C: D2890052 00011103
	s_and_b32 s82, s82, 0xffffff                               // 00000000A154: 8652FF52 00FFFFFF
	s_cmp_lt_u32 s82, s66                                      // 00000000A15C: BF0A4252
	s_cselect_b32 s20, s36, s60                                // 00000000A160: 85143C24
	v_readlane_b32 s82, v3, 9                                  // 00000000A164: D2890052 00011303
	s_and_b32 s82, s82, 0xffffff                               // 00000000A16C: 8652FF52 00FFFFFF
	s_cmp_lt_u32 s82, s66                                      // 00000000A174: BF0A4252
	s_cselect_b32 s21, s36, s60                                // 00000000A178: 85153C24
	s_mov_b64 exec, s[20:21]                                   // 00000000A17C: BEFE0114
	global_atomic_add_f32 v6, v116, s[8:9]                     // 00000000A180: DD348000 00087406
	global_atomic_add_f32 v6, v120, s[8:9] offset:256          // 00000000A188: DD348100 00087806
	s_mov_b64 exec, s[36:37]                                   // 00000000A190: BEFE0124
	v_mov_b32_e32 v6, v53                                      // 00000000A194: 7E0C0335
	s_mov_b64 s[60:61], 0                                      // 00000000A198: BEBC0180
	v_readlane_b32 s82, v3, 10                                 // 00000000A19C: D2890052 00011503
	s_and_b32 s82, s82, 0xffffff                               // 00000000A1A4: 8652FF52 00FFFFFF
	s_cmp_lt_u32 s82, s66                                      // 00000000A1AC: BF0A4252
	s_cselect_b32 s20, s36, s60                                // 00000000A1B0: 85143C24
	v_readlane_b32 s82, v3, 11                                 // 00000000A1B4: D2890052 00011703
	s_and_b32 s82, s82, 0xffffff                               // 00000000A1BC: 8652FF52 00FFFFFF
	s_cmp_lt_u32 s82, s66                                      // 00000000A1C4: BF0A4252
	s_cselect_b32 s21, s36, s60                                // 00000000A1C8: 85153C24
	s_mov_b64 exec, s[20:21]                                   // 00000000A1CC: BEFE0114
	global_atomic_add_f32 v6, v117, s[8:9]                     // 00000000A1D0: DD348000 00087506
	global_atomic_add_f32 v6, v121, s[8:9] offset:256          // 00000000A1D8: DD348100 00087906
	s_mov_b64 exec, s[36:37]                                   // 00000000A1E0: BEFE0124
	v_mov_b32_e32 v6, v54                                      // 00000000A1E4: 7E0C0336
	s_mov_b64 s[60:61], 0                                      // 00000000A1E8: BEBC0180
	v_readlane_b32 s82, v3, 12                                 // 00000000A1EC: D2890052 00011903
	s_and_b32 s82, s82, 0xffffff                               // 00000000A1F4: 8652FF52 00FFFFFF
	s_cmp_lt_u32 s82, s66                                      // 00000000A1FC: BF0A4252
	s_cselect_b32 s20, s36, s60                                // 00000000A200: 85143C24
	v_readlane_b32 s82, v3, 13                                 // 00000000A204: D2890052 00011B03
	s_and_b32 s82, s82, 0xffffff                               // 00000000A20C: 8652FF52 00FFFFFF
	s_cmp_lt_u32 s82, s66                                      // 00000000A214: BF0A4252
	s_cselect_b32 s21, s36, s60                                // 00000000A218: 85153C24
	s_mov_b64 exec, s[20:21]                                   // 00000000A21C: BEFE0114
	global_atomic_add_f32 v6, v124, s[8:9]                     // 00000000A220: DD348000 00087C06
	global_atomic_add_f32 v6, v128, s[8:9] offset:256          // 00000000A228: DD348100 00088006
	s_mov_b64 exec, s[36:37]                                   // 00000000A230: BEFE0124
	v_mov_b32_e32 v6, v55                                      // 00000000A234: 7E0C0337
	s_mov_b64 s[60:61], 0                                      // 00000000A238: BEBC0180
	v_readlane_b32 s82, v3, 14                                 // 00000000A23C: D2890052 00011D03
	s_and_b32 s82, s82, 0xffffff                               // 00000000A244: 8652FF52 00FFFFFF
	s_cmp_lt_u32 s82, s66                                      // 00000000A24C: BF0A4252
	s_cselect_b32 s20, s36, s60                                // 00000000A250: 85143C24
	v_readlane_b32 s82, v3, 15                                 // 00000000A254: D2890052 00011F03
	s_and_b32 s82, s82, 0xffffff                               // 00000000A25C: 8652FF52 00FFFFFF
	s_cmp_lt_u32 s82, s66                                      // 00000000A264: BF0A4252
	s_cselect_b32 s21, s36, s60                                // 00000000A268: 85153C24
	s_mov_b64 exec, s[20:21]                                   // 00000000A26C: BEFE0114
	global_atomic_add_f32 v6, v125, s[8:9]                     // 00000000A270: DD348000 00087D06
	global_atomic_add_f32 v6, v129, s[8:9] offset:256          // 00000000A278: DD348100 00088106
	s_mov_b64 exec, s[36:37]                                   // 00000000A280: BEFE0124
	v_mov_b32_e32 v6, v56                                      // 00000000A284: 7E0C0338
	s_mov_b64 s[60:61], 0                                      // 00000000A288: BEBC0180
	v_readlane_b32 s82, v3, 16                                 // 00000000A28C: D2890052 00012103
	s_and_b32 s82, s82, 0xffffff                               // 00000000A294: 8652FF52 00FFFFFF
	s_cmp_lt_u32 s82, s66                                      // 00000000A29C: BF0A4252
	s_cselect_b32 s20, s36, s60                                // 00000000A2A0: 85143C24
	v_readlane_b32 s82, v3, 17                                 // 00000000A2A4: D2890052 00012303
	s_and_b32 s82, s82, 0xffffff                               // 00000000A2AC: 8652FF52 00FFFFFF
	s_cmp_lt_u32 s82, s66                                      // 00000000A2B4: BF0A4252
	s_cselect_b32 s21, s36, s60                                // 00000000A2B8: 85153C24
	s_mov_b64 exec, s[20:21]                                   // 00000000A2BC: BEFE0114
	global_atomic_add_f32 v6, v132, s[8:9]                     // 00000000A2C0: DD348000 00088406
	global_atomic_add_f32 v6, v136, s[8:9] offset:256          // 00000000A2C8: DD348100 00088806
	s_mov_b64 exec, s[36:37]                                   // 00000000A2D0: BEFE0124
	v_mov_b32_e32 v6, v57                                      // 00000000A2D4: 7E0C0339
	s_mov_b64 s[60:61], 0                                      // 00000000A2D8: BEBC0180
	v_readlane_b32 s82, v3, 18                                 // 00000000A2DC: D2890052 00012503
	s_and_b32 s82, s82, 0xffffff                               // 00000000A2E4: 8652FF52 00FFFFFF
	s_cmp_lt_u32 s82, s66                                      // 00000000A2EC: BF0A4252
	s_cselect_b32 s20, s36, s60                                // 00000000A2F0: 85143C24
	v_readlane_b32 s82, v3, 19                                 // 00000000A2F4: D2890052 00012703
	s_and_b32 s82, s82, 0xffffff                               // 00000000A2FC: 8652FF52 00FFFFFF
	s_cmp_lt_u32 s82, s66                                      // 00000000A304: BF0A4252
	s_cselect_b32 s21, s36, s60                                // 00000000A308: 85153C24
	s_mov_b64 exec, s[20:21]                                   // 00000000A30C: BEFE0114
	global_atomic_add_f32 v6, v133, s[8:9]                     // 00000000A310: DD348000 00088506
	global_atomic_add_f32 v6, v137, s[8:9] offset:256          // 00000000A318: DD348100 00088906
	s_mov_b64 exec, s[36:37]                                   // 00000000A320: BEFE0124
	ds_write_b64 v20, v[102:103]                               // 00000000A324: D89A0000 00006614
	ds_write_b64 v20, v[106:107] offset:4352                   // 00000000A32C: D89A1100 00006A14
	ds_write_b64 v20, v[110:111] offset:8704                   // 00000000A334: D89A2200 00006E14
	ds_write_b64 v20, v[114:115] offset:13056                  // 00000000A33C: D89A3300 00007214
	ds_write_b64 v20, v[118:119] offset:17408                  // 00000000A344: D89A4400 00007614
	ds_write_b64 v20, v[122:123] offset:2176                   // 00000000A34C: D89A0880 00007A14
	ds_write_b64 v20, v[126:127] offset:6528                   // 00000000A354: D89A1980 00007E14
	ds_write_b64 v20, v[130:131] offset:10880                  // 00000000A35C: D89A2A80 00008214
	ds_write_b64 v20, v[134:135] offset:15232                  // 00000000A364: D89A3B80 00008614
	ds_write_b64 v20, v[138:139] offset:19584                  // 00000000A36C: D89A4C80 00008A14
	s_waitcnt lgkmcnt(0)                                       // 00000000A374: BF8CC07F
	s_barrier                                                  // 00000000A378: BF8A0000
	ds_read_b32 v102, v21                                      // 00000000A37C: D86C0000 66000015
	ds_read_b32 v103, v21 offset:64                            // 00000000A384: D86C0040 67000015
	ds_read_b32 v106, v21 offset:2176                          // 00000000A38C: D86C0880 6A000015
	ds_read_b32 v107, v21 offset:2240                          // 00000000A394: D86C08C0 6B000015
	ds_read_b32 v110, v21 offset:4352                          // 00000000A39C: D86C1100 6E000015
	ds_read_b32 v111, v21 offset:4416                          // 00000000A3A4: D86C1140 6F000015
	ds_read_b32 v114, v21 offset:6528                          // 00000000A3AC: D86C1980 72000015
	ds_read_b32 v115, v21 offset:6592                          // 00000000A3B4: D86C19C0 73000015
	ds_read_b32 v118, v21 offset:8704                          // 00000000A3BC: D86C2200 76000015
	ds_read_b32 v119, v21 offset:8768                          // 00000000A3C4: D86C2240 77000015
	ds_read_b32 v122, v21 offset:10880                         // 00000000A3CC: D86C2A80 7A000015
	ds_read_b32 v123, v21 offset:10944                         // 00000000A3D4: D86C2AC0 7B000015
	ds_read_b32 v126, v21 offset:13056                         // 00000000A3DC: D86C3300 7E000015
	ds_read_b32 v127, v21 offset:13120                         // 00000000A3E4: D86C3340 7F000015
	ds_read_b32 v130, v21 offset:15232                         // 00000000A3EC: D86C3B80 82000015
	ds_read_b32 v131, v21 offset:15296                         // 00000000A3F4: D86C3BC0 83000015
	ds_read_b32 v134, v21 offset:17408                         // 00000000A3FC: D86C4400 86000015
	ds_read_b32 v135, v21 offset:17472                         // 00000000A404: D86C4440 87000015
	ds_read_b32 v138, v21 offset:19584                         // 00000000A40C: D86C4C80 8A000015
	ds_read_b32 v139, v21 offset:19648                         // 00000000A414: D86C4CC0 8B000015
	s_waitcnt lgkmcnt(0)                                       // 00000000A41C: BF8CC07F
	v_mov_b32_e32 v7, 0                                        // 00000000A420: 7E0E0280
	s_mov_b64 exec, s[36:37]                                   // 00000000A424: BEFE0124
	v_mov_b32_e32 v6, v48                                      // 00000000A428: 7E0C0330
	s_mov_b64 s[60:61], 0                                      // 00000000A42C: BEBC0180
	v_readlane_b32 s82, v3, 0                                  // 00000000A430: D2890052 00010103
	s_and_b32 s82, s82, 0xffffff                               // 00000000A438: 8652FF52 00FFFFFF
	s_cmp_lt_u32 s82, s66                                      // 00000000A440: BF0A4252
	s_cselect_b32 s20, s36, s60                                // 00000000A444: 85143C24
	v_readlane_b32 s82, v3, 1                                  // 00000000A448: D2890052 00010303
	s_and_b32 s82, s82, 0xffffff                               // 00000000A450: 8652FF52 00FFFFFF
	s_cmp_lt_u32 s82, s66                                      // 00000000A458: BF0A4252
	s_cselect_b32 s21, s36, s60                                // 00000000A45C: 85153C24
	s_mov_b64 exec, s[20:21]                                   // 00000000A460: BEFE0114
	global_atomic_add_f32 v6, v102, s[8:9] offset:8            // 00000000A464: DD348008 00086606
	global_atomic_add_f32 v6, v106, s[8:9] offset:264          // 00000000A46C: DD348108 00086A06
	s_mov_b64 exec, s[36:37]                                   // 00000000A474: BEFE0124
	v_mov_b32_e32 v6, v49                                      // 00000000A478: 7E0C0331
	s_mov_b64 s[60:61], 0                                      // 00000000A47C: BEBC0180
	v_readlane_b32 s82, v3, 2                                  // 00000000A480: D2890052 00010503
	s_and_b32 s82, s82, 0xffffff                               // 00000000A488: 8652FF52 00FFFFFF
	s_cmp_lt_u32 s82, s66                                      // 00000000A490: BF0A4252
	s_cselect_b32 s20, s36, s60                                // 00000000A494: 85143C24
	v_readlane_b32 s82, v3, 3                                  // 00000000A498: D2890052 00010703
	s_and_b32 s82, s82, 0xffffff                               // 00000000A4A0: 8652FF52 00FFFFFF
	s_cmp_lt_u32 s82, s66                                      // 00000000A4A8: BF0A4252
	s_cselect_b32 s21, s36, s60                                // 00000000A4AC: 85153C24
	s_mov_b64 exec, s[20:21]                                   // 00000000A4B0: BEFE0114
	global_atomic_add_f32 v6, v103, s[8:9] offset:8            // 00000000A4B4: DD348008 00086706
	global_atomic_add_f32 v6, v107, s[8:9] offset:264          // 00000000A4BC: DD348108 00086B06
	s_mov_b64 exec, s[36:37]                                   // 00000000A4C4: BEFE0124
	v_mov_b32_e32 v6, v50                                      // 00000000A4C8: 7E0C0332
	s_mov_b64 s[60:61], 0                                      // 00000000A4CC: BEBC0180
	v_readlane_b32 s82, v3, 4                                  // 00000000A4D0: D2890052 00010903
	s_and_b32 s82, s82, 0xffffff                               // 00000000A4D8: 8652FF52 00FFFFFF
	s_cmp_lt_u32 s82, s66                                      // 00000000A4E0: BF0A4252
	s_cselect_b32 s20, s36, s60                                // 00000000A4E4: 85143C24
	v_readlane_b32 s82, v3, 5                                  // 00000000A4E8: D2890052 00010B03
	s_and_b32 s82, s82, 0xffffff                               // 00000000A4F0: 8652FF52 00FFFFFF
	s_cmp_lt_u32 s82, s66                                      // 00000000A4F8: BF0A4252
	s_cselect_b32 s21, s36, s60                                // 00000000A4FC: 85153C24
	s_mov_b64 exec, s[20:21]                                   // 00000000A500: BEFE0114
	global_atomic_add_f32 v6, v110, s[8:9] offset:8            // 00000000A504: DD348008 00086E06
	global_atomic_add_f32 v6, v114, s[8:9] offset:264          // 00000000A50C: DD348108 00087206
	s_mov_b64 exec, s[36:37]                                   // 00000000A514: BEFE0124
	v_mov_b32_e32 v6, v51                                      // 00000000A518: 7E0C0333
	s_mov_b64 s[60:61], 0                                      // 00000000A51C: BEBC0180
	v_readlane_b32 s82, v3, 6                                  // 00000000A520: D2890052 00010D03
	s_and_b32 s82, s82, 0xffffff                               // 00000000A528: 8652FF52 00FFFFFF
	s_cmp_lt_u32 s82, s66                                      // 00000000A530: BF0A4252
	s_cselect_b32 s20, s36, s60                                // 00000000A534: 85143C24
	v_readlane_b32 s82, v3, 7                                  // 00000000A538: D2890052 00010F03
	s_and_b32 s82, s82, 0xffffff                               // 00000000A540: 8652FF52 00FFFFFF
	s_cmp_lt_u32 s82, s66                                      // 00000000A548: BF0A4252
	s_cselect_b32 s21, s36, s60                                // 00000000A54C: 85153C24
	s_mov_b64 exec, s[20:21]                                   // 00000000A550: BEFE0114
	global_atomic_add_f32 v6, v111, s[8:9] offset:8            // 00000000A554: DD348008 00086F06
	global_atomic_add_f32 v6, v115, s[8:9] offset:264          // 00000000A55C: DD348108 00087306
	s_mov_b64 exec, s[36:37]                                   // 00000000A564: BEFE0124
	v_mov_b32_e32 v6, v52                                      // 00000000A568: 7E0C0334
	s_mov_b64 s[60:61], 0                                      // 00000000A56C: BEBC0180
	v_readlane_b32 s82, v3, 8                                  // 00000000A570: D2890052 00011103
	s_and_b32 s82, s82, 0xffffff                               // 00000000A578: 8652FF52 00FFFFFF
	s_cmp_lt_u32 s82, s66                                      // 00000000A580: BF0A4252
	s_cselect_b32 s20, s36, s60                                // 00000000A584: 85143C24
	v_readlane_b32 s82, v3, 9                                  // 00000000A588: D2890052 00011303
	s_and_b32 s82, s82, 0xffffff                               // 00000000A590: 8652FF52 00FFFFFF
	s_cmp_lt_u32 s82, s66                                      // 00000000A598: BF0A4252
	s_cselect_b32 s21, s36, s60                                // 00000000A59C: 85153C24
	s_mov_b64 exec, s[20:21]                                   // 00000000A5A0: BEFE0114
	global_atomic_add_f32 v6, v118, s[8:9] offset:8            // 00000000A5A4: DD348008 00087606
	global_atomic_add_f32 v6, v122, s[8:9] offset:264          // 00000000A5AC: DD348108 00087A06
	s_mov_b64 exec, s[36:37]                                   // 00000000A5B4: BEFE0124
	v_mov_b32_e32 v6, v53                                      // 00000000A5B8: 7E0C0335
	s_mov_b64 s[60:61], 0                                      // 00000000A5BC: BEBC0180
	v_readlane_b32 s82, v3, 10                                 // 00000000A5C0: D2890052 00011503
	s_and_b32 s82, s82, 0xffffff                               // 00000000A5C8: 8652FF52 00FFFFFF
	s_cmp_lt_u32 s82, s66                                      // 00000000A5D0: BF0A4252
	s_cselect_b32 s20, s36, s60                                // 00000000A5D4: 85143C24
	v_readlane_b32 s82, v3, 11                                 // 00000000A5D8: D2890052 00011703
	s_and_b32 s82, s82, 0xffffff                               // 00000000A5E0: 8652FF52 00FFFFFF
	s_cmp_lt_u32 s82, s66                                      // 00000000A5E8: BF0A4252
	s_cselect_b32 s21, s36, s60                                // 00000000A5EC: 85153C24
	s_mov_b64 exec, s[20:21]                                   // 00000000A5F0: BEFE0114
	global_atomic_add_f32 v6, v119, s[8:9] offset:8            // 00000000A5F4: DD348008 00087706
	global_atomic_add_f32 v6, v123, s[8:9] offset:264          // 00000000A5FC: DD348108 00087B06
	s_mov_b64 exec, s[36:37]                                   // 00000000A604: BEFE0124
	v_mov_b32_e32 v6, v54                                      // 00000000A608: 7E0C0336
	s_mov_b64 s[60:61], 0                                      // 00000000A60C: BEBC0180
	v_readlane_b32 s82, v3, 12                                 // 00000000A610: D2890052 00011903
	s_and_b32 s82, s82, 0xffffff                               // 00000000A618: 8652FF52 00FFFFFF
	s_cmp_lt_u32 s82, s66                                      // 00000000A620: BF0A4252
	s_cselect_b32 s20, s36, s60                                // 00000000A624: 85143C24
	v_readlane_b32 s82, v3, 13                                 // 00000000A628: D2890052 00011B03
	s_and_b32 s82, s82, 0xffffff                               // 00000000A630: 8652FF52 00FFFFFF
	s_cmp_lt_u32 s82, s66                                      // 00000000A638: BF0A4252
	s_cselect_b32 s21, s36, s60                                // 00000000A63C: 85153C24
	s_mov_b64 exec, s[20:21]                                   // 00000000A640: BEFE0114
	global_atomic_add_f32 v6, v126, s[8:9] offset:8            // 00000000A644: DD348008 00087E06
	global_atomic_add_f32 v6, v130, s[8:9] offset:264          // 00000000A64C: DD348108 00088206
	s_mov_b64 exec, s[36:37]                                   // 00000000A654: BEFE0124
	v_mov_b32_e32 v6, v55                                      // 00000000A658: 7E0C0337
	s_mov_b64 s[60:61], 0                                      // 00000000A65C: BEBC0180
	v_readlane_b32 s82, v3, 14                                 // 00000000A660: D2890052 00011D03
	s_and_b32 s82, s82, 0xffffff                               // 00000000A668: 8652FF52 00FFFFFF
	s_cmp_lt_u32 s82, s66                                      // 00000000A670: BF0A4252
	s_cselect_b32 s20, s36, s60                                // 00000000A674: 85143C24
	v_readlane_b32 s82, v3, 15                                 // 00000000A678: D2890052 00011F03
	s_and_b32 s82, s82, 0xffffff                               // 00000000A680: 8652FF52 00FFFFFF
	s_cmp_lt_u32 s82, s66                                      // 00000000A688: BF0A4252
	s_cselect_b32 s21, s36, s60                                // 00000000A68C: 85153C24
	s_mov_b64 exec, s[20:21]                                   // 00000000A690: BEFE0114
	global_atomic_add_f32 v6, v127, s[8:9] offset:8            // 00000000A694: DD348008 00087F06
	global_atomic_add_f32 v6, v131, s[8:9] offset:264          // 00000000A69C: DD348108 00088306
	s_mov_b64 exec, s[36:37]                                   // 00000000A6A4: BEFE0124
	v_mov_b32_e32 v6, v56                                      // 00000000A6A8: 7E0C0338
	s_mov_b64 s[60:61], 0                                      // 00000000A6AC: BEBC0180
	v_readlane_b32 s82, v3, 16                                 // 00000000A6B0: D2890052 00012103
	s_and_b32 s82, s82, 0xffffff                               // 00000000A6B8: 8652FF52 00FFFFFF
	s_cmp_lt_u32 s82, s66                                      // 00000000A6C0: BF0A4252
	s_cselect_b32 s20, s36, s60                                // 00000000A6C4: 85143C24
	v_readlane_b32 s82, v3, 17                                 // 00000000A6C8: D2890052 00012303
	s_and_b32 s82, s82, 0xffffff                               // 00000000A6D0: 8652FF52 00FFFFFF
	s_cmp_lt_u32 s82, s66                                      // 00000000A6D8: BF0A4252
	s_cselect_b32 s21, s36, s60                                // 00000000A6DC: 85153C24
	s_mov_b64 exec, s[20:21]                                   // 00000000A6E0: BEFE0114
	global_atomic_add_f32 v6, v134, s[8:9] offset:8            // 00000000A6E4: DD348008 00088606
	global_atomic_add_f32 v6, v138, s[8:9] offset:264          // 00000000A6EC: DD348108 00088A06
	s_mov_b64 exec, s[36:37]                                   // 00000000A6F4: BEFE0124
	v_mov_b32_e32 v6, v57                                      // 00000000A6F8: 7E0C0339
	s_mov_b64 s[60:61], 0                                      // 00000000A6FC: BEBC0180
	v_readlane_b32 s82, v3, 18                                 // 00000000A700: D2890052 00012503
	s_and_b32 s82, s82, 0xffffff                               // 00000000A708: 8652FF52 00FFFFFF
	s_cmp_lt_u32 s82, s66                                      // 00000000A710: BF0A4252
	s_cselect_b32 s20, s36, s60                                // 00000000A714: 85143C24
	v_readlane_b32 s82, v3, 19                                 // 00000000A718: D2890052 00012703
	s_and_b32 s82, s82, 0xffffff                               // 00000000A720: 8652FF52 00FFFFFF
	s_cmp_lt_u32 s82, s66                                      // 00000000A728: BF0A4252
	s_cselect_b32 s21, s36, s60                                // 00000000A72C: 85153C24
	s_mov_b64 exec, s[20:21]                                   // 00000000A730: BEFE0114
	global_atomic_add_f32 v6, v135, s[8:9] offset:8            // 00000000A734: DD348008 00088706
	global_atomic_add_f32 v6, v139, s[8:9] offset:264          // 00000000A73C: DD348108 00088B06
	s_mov_b64 exec, s[36:37]                                   // 00000000A744: BEFE0124
	s_branch label_1F56                                        // 00000000A748: BF820000

000000000000a74c <label_1F56>:
	s_waitcnt vmcnt(0) expcnt(0) lgkmcnt(0)                    // 00000000A74C: BF8C0000
	s_endpgm                                                   // 00000000A750: BF810000
